;; amdgpu-corpus repo=ROCm/rocFFT kind=compiled arch=gfx906 opt=O3
	.text
	.amdgcn_target "amdgcn-amd-amdhsa--gfx906"
	.amdhsa_code_object_version 6
	.protected	bluestein_single_back_len650_dim1_half_op_CI_CI ; -- Begin function bluestein_single_back_len650_dim1_half_op_CI_CI
	.globl	bluestein_single_back_len650_dim1_half_op_CI_CI
	.p2align	8
	.type	bluestein_single_back_len650_dim1_half_op_CI_CI,@function
bluestein_single_back_len650_dim1_half_op_CI_CI: ; @bluestein_single_back_len650_dim1_half_op_CI_CI
; %bb.0:
	v_mul_u32_u24_e32 v1, 0x3f1, v0
	s_load_dwordx4 s[8:11], s[4:5], 0x28
	v_lshrrev_b32_e32 v1, 16, v1
	v_mad_u64_u32 v[20:21], s[0:1], s6, 3, v[1:2]
	v_mov_b32_e32 v21, 0
	s_waitcnt lgkmcnt(0)
	v_cmp_gt_u64_e32 vcc, s[8:9], v[20:21]
	s_and_saveexec_b64 s[0:1], vcc
	s_cbranch_execz .LBB0_10
; %bb.1:
	s_load_dwordx4 s[0:3], s[4:5], 0x18
	s_load_dwordx4 s[12:15], s[4:5], 0x0
	v_mul_lo_u16_e32 v1, 0x41, v1
	v_sub_u16_e32 v45, v0, v1
	v_lshlrev_b32_e32 v48, 2, v45
	s_waitcnt lgkmcnt(0)
	s_load_dwordx4 s[16:19], s[0:1], 0x0
	global_load_dword v46, v48, s[12:13]
	s_mov_b32 s6, 0xb8b4
	s_movk_i32 s7, 0x3a79
                                        ; implicit-def: $vgpr65
                                        ; implicit-def: $vgpr66
                                        ; implicit-def: $vgpr67
	s_waitcnt lgkmcnt(0)
	v_mad_u64_u32 v[0:1], s[0:1], s18, v20, 0
	v_mad_u64_u32 v[2:3], s[0:1], s16, v45, 0
	;; [unrolled: 1-line block ×4, first 2 shown]
	v_mov_b32_e32 v1, v4
	v_lshlrev_b64 v[0:1], 2, v[0:1]
	v_mov_b32_e32 v6, s11
	v_mov_b32_e32 v3, v5
	v_add_co_u32_e32 v4, vcc, s10, v0
	v_addc_co_u32_e32 v5, vcc, v6, v1, vcc
	v_lshlrev_b64 v[0:1], 2, v[2:3]
	s_mul_i32 s0, s17, 0x104
	v_add_co_u32_e32 v0, vcc, v4, v0
	s_mul_hi_u32 s1, s16, 0x104
	v_addc_co_u32_e32 v1, vcc, v5, v1, vcc
	s_add_i32 s0, s1, s0
	s_mul_i32 s1, s16, 0x104
	global_load_dword v2, v[0:1], off
	v_mov_b32_e32 v3, s0
	v_add_co_u32_e32 v0, vcc, s1, v0
	v_addc_co_u32_e32 v1, vcc, v1, v3, vcc
	global_load_dword v3, v[0:1], off
	global_load_dword v44, v48, s[12:13] offset:260
	v_mov_b32_e32 v4, s0
	v_add_co_u32_e32 v0, vcc, s1, v0
	v_addc_co_u32_e32 v1, vcc, v1, v4, vcc
	global_load_dword v4, v[0:1], off
	global_load_dword v43, v48, s[12:13] offset:520
	;; [unrolled: 5-line block ×6, first 2 shown]
	v_add_co_u32_e32 v0, vcc, s1, v0
	v_addc_co_u32_e32 v1, vcc, v1, v8, vcc
	global_load_dword v10, v[0:1], off
	global_load_dword v38, v48, s[12:13] offset:1820
	v_add_co_u32_e32 v0, vcc, s1, v0
	v_addc_co_u32_e32 v1, vcc, v1, v8, vcc
	global_load_dword v11, v[0:1], off
	global_load_dword v36, v48, s[12:13] offset:2080
	;; [unrolled: 4-line block ×3, first 2 shown]
	s_mov_b32 s0, 0xaaaaaaab
	v_mul_hi_u32 v0, v20, s0
	s_load_dwordx4 s[8:11], s[2:3], 0x0
	s_movk_i32 s0, 0x3b9c
	s_mov_b32 s3, 0xbb9c
	v_lshrrev_b32_e32 v0, 1, v0
	v_lshl_add_u32 v0, v0, 1, v0
	v_sub_u32_e32 v0, v20, v0
	v_mul_u32_u24_e32 v0, 0x28a, v0
	v_lshlrev_b32_e32 v47, 2, v0
	v_add_u32_e32 v37, v48, v47
	v_add_u32_e32 v15, 0x800, v37
	s_movk_i32 s1, 0x38b4
	s_movk_i32 s2, 0x34f2
	s_waitcnt vmcnt(18)
	v_lshrrev_b32_e32 v1, 16, v2
	v_mul_f16_sdwa v0, v46, v2 dst_sel:DWORD dst_unused:UNUSED_PAD src0_sel:WORD_1 src1_sel:DWORD
	v_mul_f16_sdwa v8, v46, v1 dst_sel:DWORD dst_unused:UNUSED_PAD src0_sel:WORD_1 src1_sel:DWORD
	v_fma_f16 v0, v46, v1, -v0
	v_fma_f16 v8, v46, v2, v8
	s_waitcnt vmcnt(17)
	v_lshrrev_b32_e32 v1, 16, v3
	s_waitcnt vmcnt(16)
	v_mul_f16_sdwa v2, v44, v1 dst_sel:DWORD dst_unused:UNUSED_PAD src0_sel:WORD_1 src1_sel:DWORD
	v_fma_f16 v2, v44, v3, v2
	v_mul_f16_sdwa v3, v44, v3 dst_sel:DWORD dst_unused:UNUSED_PAD src0_sel:WORD_1 src1_sel:DWORD
	v_fma_f16 v1, v44, v1, -v3
	v_pack_b32_f16 v0, v8, v0
	v_pack_b32_f16 v1, v2, v1
	ds_write2_b32 v37, v0, v1 offset1:65
	s_waitcnt vmcnt(15)
	v_lshrrev_b32_e32 v0, 16, v4
	s_waitcnt vmcnt(14)
	v_mul_f16_sdwa v1, v43, v0 dst_sel:DWORD dst_unused:UNUSED_PAD src0_sel:WORD_1 src1_sel:DWORD
	v_mul_f16_sdwa v2, v43, v4 dst_sel:DWORD dst_unused:UNUSED_PAD src0_sel:WORD_1 src1_sel:DWORD
	v_fma_f16 v1, v43, v4, v1
	v_fma_f16 v0, v43, v0, -v2
	v_pack_b32_f16 v0, v1, v0
	s_waitcnt vmcnt(13)
	v_lshrrev_b32_e32 v1, 16, v5
	s_waitcnt vmcnt(12)
	v_mul_f16_sdwa v2, v42, v1 dst_sel:DWORD dst_unused:UNUSED_PAD src0_sel:WORD_1 src1_sel:DWORD
	v_mul_f16_sdwa v3, v42, v5 dst_sel:DWORD dst_unused:UNUSED_PAD src0_sel:WORD_1 src1_sel:DWORD
	v_fma_f16 v2, v42, v5, v2
	v_fma_f16 v1, v42, v1, -v3
	v_pack_b32_f16 v1, v2, v1
	ds_write2_b32 v37, v0, v1 offset0:130 offset1:195
	s_waitcnt vmcnt(11)
	v_lshrrev_b32_e32 v0, 16, v6
	s_waitcnt vmcnt(10)
	v_mul_f16_sdwa v1, v41, v0 dst_sel:DWORD dst_unused:UNUSED_PAD src0_sel:WORD_1 src1_sel:DWORD
	v_mul_f16_sdwa v2, v41, v6 dst_sel:DWORD dst_unused:UNUSED_PAD src0_sel:WORD_1 src1_sel:DWORD
	v_fma_f16 v1, v41, v6, v1
	v_fma_f16 v0, v41, v0, -v2
	v_pack_b32_f16 v0, v1, v0
	s_waitcnt vmcnt(9)
	v_lshrrev_b32_e32 v1, 16, v7
	s_waitcnt vmcnt(8)
	v_mul_f16_sdwa v2, v40, v1 dst_sel:DWORD dst_unused:UNUSED_PAD src0_sel:WORD_1 src1_sel:DWORD
	v_mul_f16_sdwa v3, v40, v7 dst_sel:DWORD dst_unused:UNUSED_PAD src0_sel:WORD_1 src1_sel:DWORD
	v_fma_f16 v2, v40, v7, v2
	v_fma_f16 v1, v40, v1, -v3
	v_pack_b32_f16 v1, v2, v1
	v_add_u32_e32 v8, 0x400, v37
	ds_write2_b32 v8, v0, v1 offset0:4 offset1:69
	s_waitcnt vmcnt(7)
	v_lshrrev_b32_e32 v0, 16, v9
	s_waitcnt vmcnt(6)
	v_mul_f16_sdwa v1, v39, v0 dst_sel:DWORD dst_unused:UNUSED_PAD src0_sel:WORD_1 src1_sel:DWORD
	v_mul_f16_sdwa v2, v39, v9 dst_sel:DWORD dst_unused:UNUSED_PAD src0_sel:WORD_1 src1_sel:DWORD
	v_fma_f16 v1, v39, v9, v1
	v_fma_f16 v0, v39, v0, -v2
	v_pack_b32_f16 v0, v1, v0
	s_waitcnt vmcnt(5)
	v_lshrrev_b32_e32 v1, 16, v10
	s_waitcnt vmcnt(4)
	v_mul_f16_sdwa v2, v38, v1 dst_sel:DWORD dst_unused:UNUSED_PAD src0_sel:WORD_1 src1_sel:DWORD
	v_mul_f16_sdwa v3, v38, v10 dst_sel:DWORD dst_unused:UNUSED_PAD src0_sel:WORD_1 src1_sel:DWORD
	v_fma_f16 v2, v38, v10, v2
	v_fma_f16 v1, v38, v1, -v3
	v_pack_b32_f16 v1, v2, v1
	ds_write2_b32 v8, v0, v1 offset0:134 offset1:199
	s_waitcnt vmcnt(3)
	v_lshrrev_b32_e32 v0, 16, v11
	s_waitcnt vmcnt(2)
	v_mul_f16_sdwa v1, v36, v0 dst_sel:DWORD dst_unused:UNUSED_PAD src0_sel:WORD_1 src1_sel:DWORD
	v_mul_f16_sdwa v2, v36, v11 dst_sel:DWORD dst_unused:UNUSED_PAD src0_sel:WORD_1 src1_sel:DWORD
	v_fma_f16 v1, v36, v11, v1
	v_fma_f16 v0, v36, v0, -v2
	v_pack_b32_f16 v0, v1, v0
	s_waitcnt vmcnt(1)
	v_lshrrev_b32_e32 v1, 16, v12
	s_waitcnt vmcnt(0)
	v_mul_f16_sdwa v2, v35, v1 dst_sel:DWORD dst_unused:UNUSED_PAD src0_sel:WORD_1 src1_sel:DWORD
	v_mul_f16_sdwa v3, v35, v12 dst_sel:DWORD dst_unused:UNUSED_PAD src0_sel:WORD_1 src1_sel:DWORD
	v_fma_f16 v2, v35, v12, v2
	v_fma_f16 v1, v35, v1, -v3
	v_pack_b32_f16 v1, v2, v1
	ds_write2_b32 v15, v0, v1 offset0:8 offset1:73
	s_waitcnt lgkmcnt(0)
	s_barrier
	ds_read2_b32 v[0:1], v37 offset1:65
	ds_read2_b32 v[2:3], v37 offset0:130 offset1:195
	ds_read2_b32 v[4:5], v8 offset0:4 offset1:69
	;; [unrolled: 1-line block ×3, first 2 shown]
	s_waitcnt lgkmcnt(2)
	v_pk_add_f16 v9, v0, v2
	s_waitcnt lgkmcnt(1)
	v_pk_add_f16 v11, v9, v4
	v_pk_add_f16 v9, v1, v3
	;; [unrolled: 1-line block ×3, first 2 shown]
	ds_read2_b32 v[9:10], v15 offset0:8 offset1:73
	s_waitcnt lgkmcnt(1)
	v_pk_add_f16 v12, v12, v7
	v_add_f16_e32 v13, v4, v6
	v_sub_f16_sdwa v14, v4, v6 dst_sel:DWORD dst_unused:UNUSED_PAD src0_sel:WORD_1 src1_sel:WORD_1
	v_sub_f16_e32 v16, v2, v4
	s_waitcnt lgkmcnt(0)
	v_add_f16_e32 v30, v2, v9
	v_sub_f16_e32 v17, v4, v2
	v_add_f16_sdwa v18, v4, v6 dst_sel:DWORD dst_unused:UNUSED_PAD src0_sel:WORD_1 src1_sel:WORD_1
	v_sub_f16_e32 v19, v4, v6
	v_sub_f16_sdwa v21, v2, v4 dst_sel:DWORD dst_unused:UNUSED_PAD src0_sel:WORD_1 src1_sel:WORD_1
	v_sub_f16_sdwa v4, v4, v2 dst_sel:DWORD dst_unused:UNUSED_PAD src0_sel:WORD_1 src1_sel:WORD_1
	v_add_f16_e32 v22, v5, v7
	v_sub_f16_sdwa v23, v5, v7 dst_sel:DWORD dst_unused:UNUSED_PAD src0_sel:WORD_1 src1_sel:WORD_1
	v_sub_f16_e32 v24, v3, v5
	v_sub_f16_e32 v25, v5, v3
	v_add_f16_sdwa v26, v5, v7 dst_sel:DWORD dst_unused:UNUSED_PAD src0_sel:WORD_1 src1_sel:WORD_1
	v_sub_f16_e32 v27, v5, v7
	v_sub_f16_sdwa v28, v3, v5 dst_sel:DWORD dst_unused:UNUSED_PAD src0_sel:WORD_1 src1_sel:WORD_1
	v_sub_f16_sdwa v5, v5, v3 dst_sel:DWORD dst_unused:UNUSED_PAD src0_sel:WORD_1 src1_sel:WORD_1
	;; [unrolled: 1-line block ×3, first 2 shown]
	v_add_f16_e32 v33, v3, v10
	v_sub_f16_e32 v34, v3, v10
	v_add_f16_sdwa v3, v3, v10 dst_sel:DWORD dst_unused:UNUSED_PAD src0_sel:WORD_1 src1_sel:WORD_1
	v_pk_add_f16 v11, v11, v6
	v_sub_f16_e32 v49, v9, v6
	v_sub_f16_e32 v50, v6, v9
	v_sub_f16_sdwa v51, v9, v6 dst_sel:DWORD dst_unused:UNUSED_PAD src0_sel:WORD_1 src1_sel:WORD_1
	v_sub_f16_sdwa v6, v6, v9 dst_sel:DWORD dst_unused:UNUSED_PAD src0_sel:WORD_1 src1_sel:WORD_1
	v_sub_f16_e32 v52, v10, v7
	v_sub_f16_e32 v53, v7, v10
	v_sub_f16_sdwa v54, v10, v7 dst_sel:DWORD dst_unused:UNUSED_PAD src0_sel:WORD_1 src1_sel:WORD_1
	v_sub_f16_sdwa v7, v7, v10 dst_sel:DWORD dst_unused:UNUSED_PAD src0_sel:WORD_1 src1_sel:WORD_1
	v_pk_add_f16 v10, v12, v10
	v_fma_f16 v12, v30, -0.5, v0
	v_sub_f16_sdwa v29, v2, v9 dst_sel:DWORD dst_unused:UNUSED_PAD src0_sel:WORD_1 src1_sel:WORD_1
	v_sub_f16_e32 v31, v2, v9
	v_add_f16_sdwa v2, v2, v9 dst_sel:DWORD dst_unused:UNUSED_PAD src0_sel:WORD_1 src1_sel:WORD_1
	v_pk_add_f16 v9, v11, v9
	v_add_f16_e32 v11, v17, v50
	v_fma_f16 v17, v14, s3, v12
	v_fma_f16 v12, v14, s0, v12
	v_add_f16_e32 v4, v4, v6
	v_lshrrev_b32_e32 v6, 16, v0
	v_fma_f16 v17, v29, s1, v17
	v_fma_f16 v12, v29, s6, v12
	v_fma_f16 v2, v2, -0.5, v6
	v_fma_f16 v17, v11, s2, v17
	v_fma_f16 v11, v11, s2, v12
	;; [unrolled: 1-line block ×8, first 2 shown]
	v_add_f16_e32 v2, v25, v53
	v_fma_f16 v25, v33, -0.5, v1
	v_fma_f16 v30, v23, s3, v25
	v_fma_f16 v25, v23, s0, v25
	;; [unrolled: 1-line block ×6, first 2 shown]
	v_lshrrev_b32_e32 v25, 16, v1
	v_fma_f16 v22, v22, -0.5, v1
	v_fma_f16 v1, v3, -0.5, v25
	v_fma_f16 v3, v27, s0, v1
	v_fma_f16 v13, v13, -0.5, v0
	v_add_f16_e32 v0, v5, v7
	v_fma_f16 v3, v34, s6, v3
	v_fma_f16 v1, v27, s3, v1
	;; [unrolled: 1-line block ×5, first 2 shown]
	v_mul_f16_e32 v1, 0x3b9c, v3
	v_fma_f16 v5, v30, s2, v1
	v_mul_f16_e32 v1, 0xbb9c, v30
	v_fma_f16 v7, v3, s2, v1
	v_mul_f16_e32 v1, 0x34f2, v2
	v_fma_f16 v30, v0, s0, -v1
	v_mul_f16_e32 v0, 0x34f2, v0
	v_fma_f16 v33, v2, s3, -v0
	v_add_f16_e32 v0, v11, v30
	v_add_f16_e32 v1, v4, v33
	v_pack_b32_f16 v1, v0, v1
	v_add_f16_e32 v0, v17, v5
	v_add_f16_e32 v2, v12, v7
	v_pack_b32_f16 v0, v0, v2
	v_fma_f16 v6, v18, -0.5, v6
	v_add_f16_e32 v18, v21, v51
	v_add_f16_e32 v21, v24, v52
	v_fma_f16 v24, v26, -0.5, v25
	v_fma_f16 v2, v32, s0, v22
	v_fma_f16 v2, v23, s1, v2
	;; [unrolled: 1-line block ×3, first 2 shown]
	v_add_f16_e32 v25, v28, v54
	v_fma_f16 v2, v21, s2, v2
	v_fma_f16 v3, v27, s6, v3
	;; [unrolled: 1-line block ×3, first 2 shown]
	v_mul_f16_e32 v26, 0x3a79, v2
	v_mul_f16_e32 v2, 0xb8b4, v2
	v_fma_f16 v28, v3, s7, v2
	v_mul_lo_u16_e32 v2, 10, v45
	v_add_f16_e32 v16, v16, v49
	v_lshl_add_u32 v49, v2, 2, v47
	v_fma_f16 v2, v29, s0, v13
	v_fma_f16 v2, v14, s1, v2
	;; [unrolled: 1-line block ×7, first 2 shown]
	v_add_f16_e32 v2, v50, v26
	v_add_f16_e32 v3, v51, v28
	v_pack_b32_f16 v3, v2, v3
	v_pk_add_f16 v2, v9, v10
	s_barrier
	ds_write2_b64 v49, v[2:3], v[0:1] offset1:1
	v_sub_f16_e32 v0, v50, v26
	v_sub_f16_e32 v2, v51, v28
	v_pack_b32_f16 v0, v0, v2
	v_fma_f16 v2, v29, s3, v13
	v_fma_f16 v2, v14, s6, v2
	v_sub_f16_e32 v1, v17, v5
	v_fma_f16 v5, v16, s2, v2
	v_fma_f16 v2, v31, s0, v6
	;; [unrolled: 1-line block ×3, first 2 shown]
	v_sub_f16_e32 v3, v12, v7
	v_fma_f16 v6, v18, s2, v2
	v_fma_f16 v2, v32, s3, v22
	v_pack_b32_f16 v1, v1, v3
	v_fma_f16 v2, v23, s6, v2
	v_fma_f16 v3, v34, s0, v24
	;; [unrolled: 1-line block ×5, first 2 shown]
	v_mul_f16_e32 v7, 0x3a79, v2
	v_fma_f16 v7, v3, s1, -v7
	v_mul_f16_e32 v3, 0x3a79, v3
	v_fma_f16 v12, v2, s6, -v3
	v_pk_add_f16 v3, v9, v10 neg_lo:[0,1] neg_hi:[0,1]
	v_add_f16_e32 v2, v5, v7
	v_add_f16_e32 v9, v6, v12
	v_pack_b32_f16 v2, v2, v9
	v_sub_f16_e32 v9, v11, v30
	v_sub_f16_e32 v5, v5, v7
	;; [unrolled: 1-line block ×4, first 2 shown]
	ds_write2_b64 v49, v[2:3], v[0:1] offset0:2 offset1:3
	v_pack_b32_f16 v1, v5, v6
	v_pack_b32_f16 v0, v9, v4
	s_movk_i32 s7, 0xcd
	ds_write_b64 v49, v[0:1] offset:32
	v_mul_lo_u16_sdwa v0, v45, s7 dst_sel:DWORD dst_unused:UNUSED_PAD src0_sel:BYTE_0 src1_sel:DWORD
	v_lshrrev_b16_e32 v19, 11, v0
	v_mul_lo_u16_e32 v0, 10, v19
	v_sub_u16_e32 v25, v45, v0
	v_mov_b32_e32 v0, 4
	v_lshlrev_b32_sdwa v1, v0, v25 dst_sel:DWORD dst_unused:UNUSED_PAD src0_sel:DWORD src1_sel:BYTE_0
	s_waitcnt lgkmcnt(0)
	s_barrier
	global_load_dwordx4 v[4:7], v1, s[14:15]
	v_add_u16_e32 v1, 0x41, v45
	v_mul_lo_u16_sdwa v2, v1, s7 dst_sel:DWORD dst_unused:UNUSED_PAD src0_sel:BYTE_0 src1_sel:DWORD
	v_lshrrev_b16_e32 v26, 11, v2
	v_mul_lo_u16_e32 v2, 10, v26
	v_sub_u16_e32 v33, v1, v2
	v_lshlrev_b32_sdwa v0, v0, v33 dst_sel:DWORD dst_unused:UNUSED_PAD src0_sel:DWORD src1_sel:BYTE_0
	global_load_dwordx4 v[0:3], v0, s[14:15]
	ds_read2_b32 v[9:10], v37 offset0:130 offset1:195
	ds_read2_b32 v[11:12], v8 offset0:4 offset1:69
	s_waitcnt lgkmcnt(1)
	v_lshrrev_b32_e32 v13, 16, v9
	s_waitcnt lgkmcnt(0)
	v_lshrrev_b32_e32 v16, 16, v11
	s_waitcnt vmcnt(1)
	v_mul_f16_sdwa v14, v9, v4 dst_sel:DWORD dst_unused:UNUSED_PAD src0_sel:DWORD src1_sel:WORD_1
	v_fma_f16 v31, v13, v4, v14
	v_mul_f16_sdwa v13, v13, v4 dst_sel:DWORD dst_unused:UNUSED_PAD src0_sel:DWORD src1_sel:WORD_1
	v_fma_f16 v9, v9, v4, -v13
	ds_read2_b32 v[13:14], v8 offset0:134 offset1:199
	v_mul_f16_sdwa v17, v11, v5 dst_sel:DWORD dst_unused:UNUSED_PAD src0_sel:DWORD src1_sel:WORD_1
	v_fma_f16 v32, v16, v5, v17
	v_mul_f16_sdwa v16, v16, v5 dst_sel:DWORD dst_unused:UNUSED_PAD src0_sel:DWORD src1_sel:WORD_1
	v_fma_f16 v11, v11, v5, -v16
	ds_read2_b32 v[15:16], v15 offset0:8 offset1:73
	s_waitcnt lgkmcnt(1)
	v_lshrrev_b32_e32 v17, 16, v13
	v_mul_f16_sdwa v18, v13, v6 dst_sel:DWORD dst_unused:UNUSED_PAD src0_sel:DWORD src1_sel:WORD_1
	v_fma_f16 v34, v17, v6, v18
	v_mul_f16_sdwa v17, v17, v6 dst_sel:DWORD dst_unused:UNUSED_PAD src0_sel:DWORD src1_sel:WORD_1
	v_fma_f16 v13, v13, v6, -v17
	s_waitcnt lgkmcnt(0)
	v_lshrrev_b32_e32 v17, 16, v15
	v_mul_f16_sdwa v18, v15, v7 dst_sel:DWORD dst_unused:UNUSED_PAD src0_sel:DWORD src1_sel:WORD_1
	v_fma_f16 v51, v17, v7, v18
	v_mul_f16_sdwa v17, v17, v7 dst_sel:DWORD dst_unused:UNUSED_PAD src0_sel:DWORD src1_sel:WORD_1
	v_fma_f16 v15, v15, v7, -v17
	ds_read2_b32 v[17:18], v37 offset1:65
	v_sub_f16_e32 v21, v11, v9
	v_sub_f16_e32 v22, v13, v15
	v_add_f16_e32 v22, v21, v22
	v_add_f16_e32 v21, v9, v15
	s_waitcnt lgkmcnt(0)
	v_fma_f16 v21, v21, -0.5, v17
	v_sub_f16_e32 v57, v32, v34
	v_sub_f16_e32 v56, v31, v51
	v_fma_f16 v23, v57, s3, v21
	v_fma_f16 v23, v56, s1, v23
	;; [unrolled: 1-line block ×5, first 2 shown]
	v_lshrrev_b32_e32 v23, 16, v10
	v_fma_f16 v22, v22, s2, v24
	s_waitcnt vmcnt(0)
	v_mul_f16_sdwa v24, v23, v0 dst_sel:DWORD dst_unused:UNUSED_PAD src0_sel:DWORD src1_sel:WORD_1
	v_fma_f16 v58, v10, v0, -v24
	v_mul_f16_sdwa v10, v10, v0 dst_sel:DWORD dst_unused:UNUSED_PAD src0_sel:DWORD src1_sel:WORD_1
	v_fma_f16 v10, v23, v0, v10
	v_lshrrev_b32_e32 v23, 16, v12
	v_mul_f16_sdwa v24, v23, v1 dst_sel:DWORD dst_unused:UNUSED_PAD src0_sel:DWORD src1_sel:WORD_1
	v_fma_f16 v59, v12, v1, -v24
	v_mul_f16_sdwa v12, v12, v1 dst_sel:DWORD dst_unused:UNUSED_PAD src0_sel:DWORD src1_sel:WORD_1
	v_fma_f16 v12, v23, v1, v12
	v_lshrrev_b32_e32 v23, 16, v14
	;; [unrolled: 5-line block ×3, first 2 shown]
	v_mul_f16_sdwa v24, v23, v3 dst_sel:DWORD dst_unused:UNUSED_PAD src0_sel:DWORD src1_sel:WORD_1
	v_fma_f16 v61, v16, v3, -v24
	v_mul_f16_sdwa v16, v16, v3 dst_sel:DWORD dst_unused:UNUSED_PAD src0_sel:DWORD src1_sel:WORD_1
	v_fma_f16 v16, v23, v3, v16
	v_sub_f16_e32 v23, v58, v59
	v_sub_f16_e32 v24, v61, v60
	v_add_f16_e32 v23, v23, v24
	v_sub_f16_e32 v24, v59, v58
	v_sub_f16_e32 v27, v60, v61
	v_add_f16_e32 v24, v24, v27
	v_add_f16_e32 v27, v59, v60
	v_fma_f16 v29, v27, -0.5, v18
	v_sub_f16_e32 v30, v10, v16
	v_add_f16_e32 v28, v58, v61
	v_fma_f16 v27, v30, s0, v29
	v_sub_f16_e32 v50, v12, v14
	v_fma_f16 v52, v28, -0.5, v18
	v_fma_f16 v29, v30, s3, v29
	v_fma_f16 v27, v50, s1, v27
	;; [unrolled: 1-line block ×11, first 2 shown]
	v_sub_f16_e32 v23, v9, v11
	v_sub_f16_e32 v24, v15, v13
	v_add_f16_e32 v62, v23, v24
	v_add_f16_e32 v23, v17, v9
	;; [unrolled: 1-line block ×5, first 2 shown]
	v_fma_f16 v63, v24, -0.5, v17
	v_add_f16_e32 v23, v23, v15
	v_sub_f16_e32 v9, v9, v15
	v_sub_f16_e32 v11, v11, v13
	;; [unrolled: 1-line block ×4, first 2 shown]
	v_lshrrev_b32_e32 v17, 16, v17
	v_add_f16_e32 v13, v13, v15
	v_mul_u32_u24_e32 v15, 50, v19
	v_add_f16_e32 v19, v17, v31
	v_add_f16_e32 v19, v19, v32
	;; [unrolled: 1-line block ×5, first 2 shown]
	v_fma_f16 v19, v19, -0.5, v17
	v_fma_f16 v24, v56, s0, v63
	v_add_u32_sdwa v15, v15, v25 dst_sel:DWORD dst_unused:UNUSED_PAD src0_sel:DWORD src1_sel:BYTE_0
	v_fma_f16 v25, v9, s3, v19
	v_fma_f16 v24, v57, s1, v24
	;; [unrolled: 1-line block ×5, first 2 shown]
	v_lshl_add_u32 v50, v15, 2, v47
	v_pack_b32_f16 v15, v23, v52
	v_pack_b32_f16 v25, v24, v53
	s_barrier
	ds_write2_b32 v50, v15, v25 offset1:10
	v_add_f16_e32 v15, v31, v51
	v_fma_f16 v15, v15, -0.5, v17
	v_sub_f16_e32 v17, v32, v31
	v_sub_f16_e32 v25, v34, v51
	v_add_f16_e32 v17, v17, v25
	v_fma_f16 v25, v11, s0, v15
	v_fma_f16 v15, v11, s3, v15
	;; [unrolled: 1-line block ×7, first 2 shown]
	v_pack_b32_f16 v15, v21, v54
	v_pack_b32_f16 v17, v22, v55
	v_fma_f16 v9, v11, s1, v9
	ds_write2_b32 v50, v15, v17 offset0:20 offset1:30
	v_fma_f16 v15, v56, s3, v63
	v_fma_f16 v56, v13, s2, v9
	v_lshrrev_b32_e32 v9, 16, v18
	v_add_f16_e32 v11, v18, v58
	v_add_f16_e32 v18, v9, v10
	;; [unrolled: 1-line block ×5, first 2 shown]
	v_fma_f16 v15, v57, s6, v15
	v_add_f16_e32 v11, v11, v60
	v_add_f16_e32 v57, v18, v16
	;; [unrolled: 1-line block ×3, first 2 shown]
	v_fma_f16 v31, v62, s2, v15
	v_add_f16_e32 v32, v11, v61
	v_sub_f16_e32 v11, v58, v61
	v_sub_f16_e32 v15, v10, v12
	v_sub_f16_e32 v17, v16, v14
	v_fma_f16 v18, v18, -0.5, v9
	v_sub_f16_e32 v13, v59, v60
	v_add_f16_e32 v15, v15, v17
	v_pack_b32_f16 v17, v31, v56
	v_fma_f16 v19, v11, s3, v18
	ds_write_b32 v50, v17 offset:160
	v_mul_u32_u24_e32 v17, 50, v26
	v_fma_f16 v19, v13, s6, v19
	v_add_u32_sdwa v17, v17, v33 dst_sel:DWORD dst_unused:UNUSED_PAD src0_sel:DWORD src1_sel:BYTE_0
	v_fma_f16 v58, v15, s2, v19
	v_lshl_add_u32 v51, v17, 2, v47
	v_pack_b32_f16 v17, v32, v57
	v_pack_b32_f16 v19, v27, v58
	ds_write2_b32 v51, v17, v19 offset1:10
	v_add_f16_e32 v17, v10, v16
	v_fma_f16 v9, v17, -0.5, v9
	v_sub_f16_e32 v10, v12, v10
	v_sub_f16_e32 v12, v14, v16
	v_add_f16_e32 v10, v10, v12
	v_fma_f16 v12, v13, s0, v9
	v_fma_f16 v9, v13, s3, v9
	;; [unrolled: 1-line block ×6, first 2 shown]
	v_pack_b32_f16 v9, v28, v59
	v_pack_b32_f16 v10, v29, v60
	ds_write2_b32 v51, v9, v10 offset0:20 offset1:30
	v_mov_b32_e32 v9, s13
	v_add_co_u32_e32 v25, vcc, s12, v48
	v_addc_co_u32_e32 v26, vcc, 0, v9, vcc
	v_fma_f16 v9, v11, s0, v18
	v_fma_f16 v9, v13, s1, v9
	;; [unrolled: 1-line block ×3, first 2 shown]
	s_load_dwordx2 s[2:3], s[4:5], 0x38
	v_pack_b32_f16 v9, v30, v61
	v_cmp_gt_u16_e32 vcc, 50, v45
	ds_write_b32 v51, v9 offset:160
	s_waitcnt lgkmcnt(0)
	s_barrier
	s_waitcnt lgkmcnt(0)
                                        ; implicit-def: $vgpr62
                                        ; implicit-def: $vgpr33
	s_and_saveexec_b64 s[0:1], vcc
	s_cbranch_execz .LBB0_3
; %bb.2:
	ds_read2_b32 v[23:24], v37 offset1:50
	ds_read2_b32 v[21:22], v37 offset0:100 offset1:150
	ds_read2_b32 v[31:32], v37 offset0:200 offset1:250
	;; [unrolled: 1-line block ×4, first 2 shown]
	v_add_u32_e32 v8, 0x600, v37
	ds_read2_b32 v[33:34], v8 offset0:116 offset1:166
	ds_read_b32 v66, v37 offset:2400
	s_waitcnt lgkmcnt(6)
	v_lshrrev_b32_e32 v52, 16, v23
	v_lshrrev_b32_e32 v53, 16, v24
	s_waitcnt lgkmcnt(5)
	v_lshrrev_b32_e32 v54, 16, v21
	v_lshrrev_b32_e32 v55, 16, v22
	;; [unrolled: 3-line block ×6, first 2 shown]
	s_waitcnt lgkmcnt(0)
	v_lshrrev_b32_e32 v67, 16, v66
.LBB0_3:
	s_or_b64 exec, exec, s[0:1]
	v_subrev_u32_e32 v8, 50, v45
	v_cndmask_b32_e32 v8, v8, v45, vcc
	v_mul_hi_i32_i24_e32 v9, 48, v8
	v_mul_i32_i24_e32 v8, 48, v8
	v_mov_b32_e32 v10, s15
	v_add_co_u32_e64 v63, s[0:1], s14, v8
	v_addc_co_u32_e64 v64, s[0:1], v10, v9, s[0:1]
	global_load_dwordx4 v[12:15], v[63:64], off offset:160
	global_load_dwordx4 v[8:11], v[63:64], off offset:176
	;; [unrolled: 1-line block ×3, first 2 shown]
	s_movk_i32 s5, 0x388b
	s_movk_i32 s6, 0x2fb7
	s_mov_b32 s14, 0xb5ac
	s_mov_b32 s7, 0xbbc4
	;; [unrolled: 1-line block ×3, first 2 shown]
	s_movk_i32 s4, 0x3b15
	s_waitcnt vmcnt(2)
	v_mul_f16_sdwa v69, v24, v12 dst_sel:DWORD dst_unused:UNUSED_PAD src0_sel:DWORD src1_sel:WORD_1
	s_waitcnt vmcnt(1)
	v_mul_f16_sdwa v77, v27, v9 dst_sel:DWORD dst_unused:UNUSED_PAD src0_sel:DWORD src1_sel:WORD_1
	;; [unrolled: 2-line block ×3, first 2 shown]
	v_mul_f16_sdwa v89, v66, v19 dst_sel:DWORD dst_unused:UNUSED_PAD src0_sel:DWORD src1_sel:WORD_1
	v_mul_f16_sdwa v68, v53, v12 dst_sel:DWORD dst_unused:UNUSED_PAD src0_sel:DWORD src1_sel:WORD_1
	;; [unrolled: 1-line block ×5, first 2 shown]
	v_fma_f16 v53, v53, v12, v69
	v_fma_f16 v58, v58, v9, v77
	v_fma_f16 v77, v66, v19, -v88
	v_fma_f16 v66, v67, v19, v89
	v_mul_f16_sdwa v63, v54, v13 dst_sel:DWORD dst_unused:UNUSED_PAD src0_sel:DWORD src1_sel:WORD_1
	v_mul_f16_sdwa v71, v22, v14 dst_sel:DWORD dst_unused:UNUSED_PAD src0_sel:DWORD src1_sel:WORD_1
	;; [unrolled: 1-line block ×6, first 2 shown]
	v_fma_f16 v68, v24, v12, -v68
	v_fma_f16 v54, v54, v13, v70
	v_fma_f16 v65, v65, v18, v87
	v_sub_f16_e32 v95, v53, v66
	v_mul_f16_sdwa v64, v55, v14 dst_sel:DWORD dst_unused:UNUSED_PAD src0_sel:DWORD src1_sel:WORD_1
	v_mul_f16_sdwa v72, v56, v15 dst_sel:DWORD dst_unused:UNUSED_PAD src0_sel:DWORD src1_sel:WORD_1
	;; [unrolled: 1-line block ×6, first 2 shown]
	v_fma_f16 v63, v21, v13, -v63
	v_fma_f16 v55, v55, v14, v71
	v_fma_f16 v56, v56, v15, v73
	v_fma_f16 v71, v27, v9, -v76
	v_fma_f16 v73, v29, v11, -v80
	v_fma_f16 v62, v62, v17, v85
	v_fma_f16 v76, v34, v18, -v86
	v_add_f16_e32 v24, v68, v77
	v_sub_f16_e32 v94, v54, v65
	v_mul_f16_e32 v80, 0xba95, v95
	v_mul_f16_sdwa v74, v57, v8 dst_sel:DWORD dst_unused:UNUSED_PAD src0_sel:DWORD src1_sel:WORD_1
	v_mul_f16_sdwa v82, v61, v16 dst_sel:DWORD dst_unused:UNUSED_PAD src0_sel:DWORD src1_sel:WORD_1
	v_fma_f16 v64, v22, v14, -v64
	v_fma_f16 v69, v31, v15, -v72
	v_fma_f16 v57, v57, v8, v75
	v_fma_f16 v60, v60, v11, v81
	;; [unrolled: 1-line block ×3, first 2 shown]
	v_fma_f16 v75, v33, v17, -v84
	v_add_f16_e32 v31, v63, v76
	v_sub_f16_e32 v93, v55, v62
	v_mul_f16_e32 v86, 0xbbf1, v95
	v_mul_f16_e32 v81, 0xbb7b, v94
	v_fma_f16 v21, v24, s5, v80
	v_mul_f16_sdwa v78, v59, v10 dst_sel:DWORD dst_unused:UNUSED_PAD src0_sel:DWORD src1_sel:WORD_1
	v_fma_f16 v70, v32, v8, -v74
	v_fma_f16 v74, v30, v16, -v82
	v_add_f16_e32 v32, v64, v75
	v_sub_f16_e32 v91, v56, v61
	v_mul_f16_e32 v87, 0xb3a8, v94
	v_mul_f16_e32 v82, 0xb3a8, v93
	v_fma_f16 v22, v24, s6, v86
	v_fma_f16 v27, v31, s14, v81
	v_add_f16_e32 v21, v23, v21
	v_mul_f16_sdwa v79, v28, v10 dst_sel:DWORD dst_unused:UNUSED_PAD src0_sel:DWORD src1_sel:WORD_1
	v_fma_f16 v72, v28, v10, -v78
	v_add_f16_e32 v33, v69, v74
	v_mul_f16_e32 v88, 0x3b7b, v93
	v_mul_f16_e32 v84, 0x394e, v91
	v_fma_f16 v28, v31, s7, v87
	v_fma_f16 v29, v32, s7, v82
	v_add_f16_e32 v22, v23, v22
	v_add_f16_e32 v21, v27, v21
	v_fma_f16 v30, v32, s14, v88
	v_add_f16_e32 v22, v28, v22
	v_add_f16_e32 v21, v29, v21
	v_fma_f16 v27, v33, s15, v84
	v_mul_f16_e32 v96, 0x3770, v91
	v_sub_f16_e32 v104, v57, v60
	v_fma_f16 v59, v59, v10, v79
	v_add_f16_e32 v22, v30, v22
	v_add_f16_e32 v21, v27, v21
	v_fma_f16 v27, v33, s4, v96
	v_add_f16_e32 v34, v70, v73
	v_mul_f16_e32 v92, 0x3bf1, v104
	v_add_f16_e32 v22, v27, v22
	v_fma_f16 v27, v34, s6, v92
	v_mul_f16_e32 v100, 0xba95, v104
	v_sub_f16_e32 v108, v58, v59
	v_add_f16_e32 v21, v27, v21
	v_fma_f16 v27, v34, s5, v100
	v_add_f16_e32 v67, v71, v72
	v_mul_f16_e32 v99, 0x3770, v108
	v_add_f16_e32 v27, v27, v22
	v_fma_f16 v22, v67, s4, v99
	v_mul_f16_e32 v105, 0xb94e, v108
	v_add_f16_e32 v22, v22, v21
	v_fma_f16 v21, v67, s15, v105
	;; [unrolled: 3-line block ×3, first 2 shown]
	v_mul_f16_e32 v98, 0xba95, v94
	v_sub_f16_e32 v122, v68, v77
	v_add_f16_e32 v27, v23, v27
	v_fma_f16 v28, v31, s5, v98
	v_add_f16_e32 v78, v53, v66
	v_mul_f16_e32 v101, 0xb770, v122
	v_sub_f16_e32 v124, v63, v76
	v_add_f16_e32 v27, v28, v27
	v_fma_f16 v28, v78, s4, -v101
	v_add_f16_e32 v79, v54, v65
	v_mul_f16_e32 v102, 0xba95, v124
	v_add_f16_e32 v28, v52, v28
	v_fma_f16 v29, v79, s5, -v102
	v_mul_f16_e32 v110, 0xba95, v122
	v_add_f16_e32 v28, v29, v28
	v_fma_f16 v29, v78, s5, -v110
	;; [unrolled: 3-line block ×5, first 2 shown]
	v_mul_f16_e32 v103, 0xbbf1, v93
	v_add_f16_e32 v30, v83, v30
	v_fma_f16 v83, v32, s6, v103
	v_sub_f16_e32 v127, v64, v75
	v_add_f16_e32 v27, v83, v27
	v_add_f16_e32 v83, v55, v62
	v_mul_f16_e32 v107, 0xbbf1, v127
	v_fma_f16 v85, v83, s6, -v107
	v_mul_f16_e32 v115, 0xb3a8, v127
	v_add_f16_e32 v28, v85, v28
	v_fma_f16 v85, v83, s7, -v115
	v_mul_f16_e32 v121, 0x3b7b, v127
	v_add_f16_e32 v29, v85, v29
	v_fma_f16 v85, v83, s14, -v121
	v_mul_f16_e32 v106, 0xbb7b, v91
	v_add_f16_e32 v30, v85, v30
	v_fma_f16 v85, v33, s14, v106
	v_sub_f16_e32 v129, v69, v74
	v_add_f16_e32 v27, v85, v27
	v_add_f16_e32 v85, v56, v61
	v_mul_f16_e32 v112, 0xbb7b, v129
	v_fma_f16 v89, v85, s14, -v112
	v_mul_f16_e32 v117, 0x394e, v129
	v_add_f16_e32 v28, v89, v28
	v_fma_f16 v89, v85, s15, -v117
	v_mul_f16_e32 v125, 0x3770, v129
	v_add_f16_e32 v29, v89, v29
	v_fma_f16 v89, v85, s4, -v125
	;; [unrolled: 14-line block ×3, first 2 shown]
	v_mul_f16_e32 v113, 0xb3a8, v108
	v_sub_f16_e32 v131, v71, v72
	v_add_f16_e32 v132, v29, v30
	v_fma_f16 v29, v67, s7, v113
	v_add_f16_e32 v90, v58, v59
	v_mul_f16_e32 v116, 0xb3a8, v131
	v_add_f16_e32 v29, v29, v27
	v_fma_f16 v27, v90, s7, -v116
	v_mul_f16_e32 v123, 0x3770, v131
	v_add_f16_e32 v30, v27, v28
	v_fma_f16 v27, v90, s4, -v123
	v_add_f16_e32 v28, v27, v128
	v_mul_f16_e32 v128, 0xb94e, v131
	v_fma_f16 v27, v90, s15, -v128
	v_add_f16_e32 v27, v27, v132
	s_and_saveexec_b64 s[0:1], vcc
	s_cbranch_execz .LBB0_5
; %bb.4:
	v_mul_f16_e32 v168, 0xb3a8, v122
	v_fma_f16 v169, v78, s7, v168
	v_mul_f16_e32 v170, 0x3770, v124
	v_add_f16_e32 v169, v52, v169
	v_fma_f16 v171, v79, s4, v170
	v_add_f16_e32 v169, v171, v169
	v_mul_f16_e32 v171, 0xb94e, v127
	v_fma_f16 v172, v83, s15, v171
	v_add_f16_e32 v169, v172, v169
	v_mul_f16_e32 v172, 0x3a95, v129
	;; [unrolled: 3-line block ×5, first 2 shown]
	v_fma_f16 v176, v24, s7, -v175
	v_mul_f16_e32 v177, 0x3770, v94
	v_add_f16_e32 v176, v23, v176
	v_fma_f16 v178, v31, s4, -v177
	v_add_f16_e32 v176, v178, v176
	v_mul_f16_e32 v178, 0xb94e, v93
	v_fma_f16 v179, v32, s15, -v178
	v_add_f16_e32 v176, v179, v176
	v_mul_f16_e32 v179, 0x3a95, v91
	;; [unrolled: 3-line block ×5, first 2 shown]
	v_fma_f16 v183, v78, s15, v182
	v_mul_f16_e32 v184, 0x3bf1, v124
	v_add_f16_e32 v183, v52, v183
	v_fma_f16 v185, v79, s6, v184
	v_add_f16_e32 v183, v185, v183
	v_mul_f16_e32 v185, 0xba95, v127
	v_fma_f16 v186, v83, s5, v185
	v_add_f16_e32 v183, v186, v183
	v_mul_f16_e32 v186, 0x33a8, v129
	;; [unrolled: 3-line block ×3, first 2 shown]
	v_add_f16_e32 v53, v52, v53
	v_fma_f16 v188, v89, s4, v187
	v_add_f16_e32 v53, v53, v54
	v_fma_f16 v54, v78, s7, -v168
	v_add_f16_e32 v183, v188, v183
	v_mul_f16_e32 v188, 0xbb7b, v131
	v_add_f16_e32 v53, v53, v55
	v_add_f16_e32 v54, v52, v54
	v_fma_f16 v55, v79, s4, -v170
	v_fma_f16 v189, v90, s14, v188
	v_add_f16_e32 v54, v55, v54
	v_fma_f16 v55, v83, s15, -v171
	v_add_f16_e32 v183, v189, v183
	v_mul_f16_e32 v189, 0xb94e, v95
	v_add_f16_e32 v54, v55, v54
	v_fma_f16 v55, v85, s5, -v172
	v_fma_f16 v190, v24, s15, -v189
	v_mul_f16_e32 v191, 0x3bf1, v94
	v_add_f16_e32 v54, v55, v54
	v_fma_f16 v55, v89, s14, -v173
	v_add_f16_e32 v190, v23, v190
	v_fma_f16 v192, v31, s6, -v191
	;; [unrolled: 2-line block ×3, first 2 shown]
	v_add_f16_e32 v190, v192, v190
	v_mul_f16_e32 v192, 0xba95, v93
	v_add_f16_e32 v54, v55, v54
	v_fma_f16 v55, v24, s7, v175
	v_mul_f16_e32 v134, 0x388b, v24
	v_fma_f16 v193, v32, s5, -v192
	v_add_f16_e32 v53, v53, v56
	v_add_f16_e32 v55, v23, v55
	v_fma_f16 v56, v31, s4, v177
	v_mul_f16_e32 v140, 0xb5ac, v31
	v_add_f16_e32 v190, v193, v190
	v_mul_f16_e32 v193, 0x33a8, v91
	v_sub_f16_e32 v80, v134, v80
	v_add_f16_e32 v55, v56, v55
	v_fma_f16 v56, v32, s15, v178
	v_mul_f16_e32 v146, 0xbbc4, v32
	v_fma_f16 v194, v33, s7, -v193
	v_add_f16_e32 v80, v23, v80
	v_sub_f16_e32 v81, v140, v81
	v_add_f16_e32 v55, v56, v55
	v_fma_f16 v56, v33, s5, v179
	v_mul_f16_e32 v152, 0xb9fd, v33
	v_add_f16_e32 v190, v194, v190
	v_mul_f16_e32 v194, 0x3770, v104
	v_add_f16_e32 v80, v81, v80
	v_sub_f16_e32 v81, v146, v82
	v_add_f16_e32 v55, v56, v55
	v_fma_f16 v56, v34, s14, v180
	v_mul_f16_e32 v158, 0x2fb7, v34
	v_fma_f16 v195, v34, s4, -v194
	v_add_f16_e32 v80, v81, v80
	v_sub_f16_e32 v81, v152, v84
	v_add_f16_e32 v55, v56, v55
	v_fma_f16 v56, v67, s6, v181
	v_mul_f16_e32 v164, 0x3b15, v67
	v_add_f16_e32 v190, v195, v190
	v_mul_f16_e32 v195, 0xbb7b, v108
	v_add_f16_e32 v80, v81, v80
	v_sub_f16_e32 v81, v158, v92
	v_add_f16_e32 v55, v56, v55
	v_fma_f16 v56, v78, s15, -v182
	v_mul_f16_e32 v133, 0x3b15, v78
	v_mul_f16_e32 v136, 0x2fb7, v24
	v_fma_f16 v196, v67, s14, -v195
	v_mul_f16_e32 v122, 0xbb7b, v122
	v_add_f16_e32 v80, v81, v80
	v_sub_f16_e32 v81, v164, v99
	v_add_f16_e32 v53, v53, v57
	v_add_f16_e32 v56, v52, v56
	v_fma_f16 v57, v79, s6, -v184
	v_mul_f16_e32 v139, 0x388b, v79
	v_mul_f16_e32 v142, 0xbbc4, v31
	v_add_f16_e32 v190, v196, v190
	v_fma_f16 v196, v78, s14, v122
	v_mul_f16_e32 v124, 0x394e, v124
	v_sub_f16_e32 v86, v136, v86
	v_add_f16_e32 v80, v81, v80
	v_add_f16_e32 v81, v101, v133
	v_add_f16_e32 v68, v23, v68
	v_add_f16_e32 v56, v57, v56
	v_fma_f16 v57, v83, s5, -v185
	v_mul_f16_e32 v145, 0x2fb7, v83
	v_mul_f16_e32 v148, 0xb5ac, v32
	v_add_f16_e32 v196, v52, v196
	v_fma_f16 v197, v79, s15, v124
	v_mul_f16_e32 v127, 0x3770, v127
	v_add_f16_e32 v86, v23, v86
	v_sub_f16_e32 v87, v142, v87
	v_add_f16_e32 v81, v52, v81
	v_add_f16_e32 v82, v102, v139
	v_add_f16_e32 v63, v68, v63
	v_add_f16_e32 v56, v57, v56
	v_fma_f16 v57, v85, s7, -v186
	v_mul_f16_e32 v151, 0xb5ac, v85
	v_mul_f16_e32 v154, 0x3b15, v33
	v_add_f16_e32 v196, v197, v196
	v_fma_f16 v197, v83, s4, v127
	v_mul_f16_e32 v129, 0xbbf1, v129
	v_add_f16_e32 v86, v87, v86
	;; [unrolled: 12-line block ×4, first 2 shown]
	v_sub_f16_e32 v87, v160, v100
	v_add_f16_e32 v81, v82, v81
	v_add_f16_e32 v82, v114, v157
	;; [unrolled: 1-line block ×4, first 2 shown]
	v_fma_f16 v57, v24, s15, v189
	v_mul_f16_e32 v132, 0x3b15, v24
	v_mul_f16_e32 v135, 0x388b, v78
	v_add_f16_e32 v196, v197, v196
	v_fma_f16 v197, v90, s5, v131
	v_mul_f16_e32 v95, 0xbb7b, v95
	v_add_f16_e32 v86, v87, v86
	v_sub_f16_e32 v87, v166, v105
	v_add_f16_e32 v81, v82, v81
	v_add_f16_e32 v82, v116, v163
	;; [unrolled: 1-line block ×5, first 2 shown]
	v_fma_f16 v58, v31, s6, v191
	v_mul_f16_e32 v137, 0x2fb7, v78
	v_mul_f16_e32 v138, 0x388b, v31
	;; [unrolled: 1-line block ×3, first 2 shown]
	v_add_f16_e32 v196, v197, v196
	v_fma_f16 v197, v24, s14, -v95
	v_mul_f16_e32 v94, 0x394e, v94
	v_add_f16_e32 v86, v87, v86
	v_add_f16_e32 v87, v110, v135
	;; [unrolled: 1-line block ×3, first 2 shown]
	v_sub_f16_e32 v82, v132, v97
	v_add_f16_e32 v63, v63, v72
	v_add_f16_e32 v53, v53, v59
	;; [unrolled: 1-line block ×3, first 2 shown]
	v_fma_f16 v58, v32, s5, v192
	v_fma_f16 v24, v24, s14, v95
	v_mul_f16_e32 v143, 0xbbc4, v79
	v_mul_f16_e32 v144, 0x2fb7, v32
	;; [unrolled: 1-line block ×3, first 2 shown]
	v_add_f16_e32 v197, v23, v197
	v_mul_f16_e32 v93, 0x3770, v93
	v_add_f16_e32 v118, v118, v137
	v_add_f16_e32 v87, v52, v87
	;; [unrolled: 1-line block ×4, first 2 shown]
	v_sub_f16_e32 v84, v138, v98
	v_add_f16_e32 v63, v63, v73
	v_add_f16_e32 v53, v53, v60
	;; [unrolled: 1-line block ×3, first 2 shown]
	v_fma_f16 v58, v33, s7, v193
	v_add_f16_e32 v23, v23, v24
	v_fma_f16 v24, v31, s15, v94
	v_mul_f16_e32 v149, 0xb5ac, v83
	v_mul_f16_e32 v150, 0xb5ac, v33
	v_mul_f16_e32 v153, 0xb9fd, v85
	v_fma_f16 v198, v31, s15, -v94
	v_mul_f16_e32 v91, 0xbbf1, v91
	v_add_f16_e32 v118, v52, v118
	v_add_f16_e32 v119, v119, v143
	;; [unrolled: 1-line block ×5, first 2 shown]
	v_sub_f16_e32 v84, v144, v103
	v_add_f16_e32 v63, v63, v74
	v_add_f16_e32 v53, v53, v61
	;; [unrolled: 1-line block ×3, first 2 shown]
	v_fma_f16 v58, v34, s4, v194
	v_add_f16_e32 v23, v24, v23
	v_fma_f16 v24, v32, s4, v93
	v_mul_f16_e32 v155, 0x3b15, v85
	v_mul_f16_e32 v156, 0xb9fd, v34
	;; [unrolled: 1-line block ×3, first 2 shown]
	v_add_f16_e32 v197, v198, v197
	v_fma_f16 v198, v32, s4, -v93
	v_mul_f16_e32 v104, 0x33a8, v104
	v_add_f16_e32 v118, v119, v118
	v_add_f16_e32 v119, v121, v149
	;; [unrolled: 1-line block ×5, first 2 shown]
	v_sub_f16_e32 v84, v150, v106
	v_add_f16_e32 v63, v63, v75
	v_add_f16_e32 v53, v53, v62
	;; [unrolled: 1-line block ×3, first 2 shown]
	v_fma_f16 v58, v67, s14, v195
	v_add_f16_e32 v23, v24, v23
	v_fma_f16 v24, v33, s6, v91
	v_mul_f16_e32 v161, 0x388b, v89
	v_mul_f16_e32 v162, 0xbbc4, v67
	;; [unrolled: 1-line block ×3, first 2 shown]
	v_add_f16_e32 v197, v198, v197
	v_fma_f16 v198, v33, s6, -v91
	v_mul_f16_e32 v108, 0x3a95, v108
	v_add_f16_e32 v118, v119, v118
	v_add_f16_e32 v119, v125, v155
	;; [unrolled: 1-line block ×5, first 2 shown]
	v_sub_f16_e32 v84, v156, v109
	v_add_f16_e32 v63, v63, v76
	v_add_f16_e32 v53, v53, v65
	;; [unrolled: 1-line block ×3, first 2 shown]
	v_fma_f16 v58, v78, s14, -v122
	v_add_f16_e32 v23, v24, v23
	v_fma_f16 v24, v34, s7, v104
	v_mul_f16_e32 v167, 0xb9fd, v90
	v_add_f16_e32 v197, v198, v197
	v_fma_f16 v198, v34, s7, -v104
	v_add_f16_e32 v118, v119, v118
	v_add_f16_e32 v119, v126, v161
	;; [unrolled: 1-line block ×5, first 2 shown]
	v_sub_f16_e32 v84, v162, v113
	v_add_f16_e32 v63, v63, v77
	v_add_f16_e32 v53, v53, v66
	;; [unrolled: 1-line block ×3, first 2 shown]
	v_fma_f16 v58, v79, s15, -v124
	v_add_f16_e32 v23, v24, v23
	v_fma_f16 v24, v67, s5, v108
	v_add_f16_e32 v197, v198, v197
	v_fma_f16 v198, v67, s5, -v108
	v_add_f16_e32 v118, v119, v118
	v_add_f16_e32 v119, v128, v167
	v_add_f16_e32 v87, v88, v87
	v_add_f16_e32 v82, v84, v82
	v_add_f16_e32 v52, v58, v52
	v_fma_f16 v58, v83, s4, -v127
	v_add_f16_e32 v23, v24, v23
	v_pack_b32_f16 v24, v63, v53
	v_add_f16_e32 v197, v198, v197
	v_add_f16_e32 v118, v119, v118
	;; [unrolled: 1-line block ×3, first 2 shown]
	v_fma_f16 v58, v85, s6, -v129
	ds_write_b32 v37, v24
	v_lshl_add_u32 v24, v45, 2, v47
	v_pack_b32_f16 v31, v82, v81
	v_pack_b32_f16 v32, v80, v87
	v_add_f16_e32 v52, v58, v52
	v_fma_f16 v58, v89, s7, -v130
	ds_write2_b32 v24, v31, v32 offset0:50 offset1:100
	v_pack_b32_f16 v31, v86, v118
	v_pack_b32_f16 v32, v197, v196
	v_add_f16_e32 v52, v58, v52
	v_fma_f16 v58, v90, s5, -v131
	ds_write2_b32 v24, v31, v32 offset0:150 offset1:200
	v_pack_b32_f16 v31, v190, v183
	v_pack_b32_f16 v32, v176, v169
	v_add_u32_e32 v33, 0x200, v24
	v_add_f16_e32 v52, v58, v52
	ds_write2_b32 v33, v31, v32 offset0:122 offset1:172
	v_pack_b32_f16 v31, v55, v54
	v_pack_b32_f16 v32, v57, v56
	v_add_u32_e32 v33, 0x400, v24
	s_mov_b32 s4, 0x5040100
	ds_write2_b32 v33, v31, v32 offset0:94 offset1:144
	v_pack_b32_f16 v23, v23, v52
	v_perm_b32 v31, v27, v21, s4
	ds_write2_b32 v33, v23, v31 offset0:194 offset1:244
	v_perm_b32 v23, v28, v22, s4
	v_perm_b32 v31, v30, v29, s4
	v_add_u32_e32 v24, 0x800, v24
	ds_write2_b32 v24, v23, v31 offset0:38 offset1:88
.LBB0_5:
	s_or_b64 exec, exec, s[0:1]
	s_waitcnt lgkmcnt(0)
	s_barrier
	global_load_dword v25, v[25:26], off offset:2600
	s_add_u32 s0, s12, 0xa28
	s_addc_u32 s1, s13, 0
	global_load_dword v56, v48, s[0:1] offset:260
	global_load_dword v57, v48, s[0:1] offset:520
	;; [unrolled: 1-line block ×9, first 2 shown]
	ds_read2_b32 v[23:24], v37 offset1:65
	ds_read2_b32 v[31:32], v37 offset0:130 offset1:195
	v_add_u32_e32 v26, 0x400, v37
	v_add_u32_e32 v65, 0x800, v37
	ds_read2_b32 v[33:34], v26 offset0:4 offset1:69
	ds_read2_b32 v[52:53], v26 offset0:134 offset1:199
	;; [unrolled: 1-line block ×3, first 2 shown]
	s_waitcnt lgkmcnt(4)
	v_lshrrev_b32_e32 v48, 16, v23
	v_lshrrev_b32_e32 v66, 16, v24
	s_waitcnt lgkmcnt(3)
	v_lshrrev_b32_e32 v67, 16, v31
	v_lshrrev_b32_e32 v68, 16, v32
	;; [unrolled: 3-line block ×5, first 2 shown]
	s_mov_b32 s1, 0xbb9c
	s_movk_i32 s5, 0x3b9c
	s_mov_b32 s0, 0xb8b4
	s_movk_i32 s6, 0x38b4
	s_movk_i32 s4, 0x34f2
	;; [unrolled: 1-line block ×3, first 2 shown]
	s_mov_b32 s12, 0xb4f2
	s_waitcnt vmcnt(6)
	v_mul_f16_sdwa v77, v68, v58 dst_sel:DWORD dst_unused:UNUSED_PAD src0_sel:DWORD src1_sel:WORD_1
	v_mul_f16_sdwa v78, v32, v58 dst_sel:DWORD dst_unused:UNUSED_PAD src0_sel:DWORD src1_sel:WORD_1
	s_waitcnt vmcnt(5)
	v_mul_f16_sdwa v79, v69, v59 dst_sel:DWORD dst_unused:UNUSED_PAD src0_sel:DWORD src1_sel:WORD_1
	v_mul_f16_sdwa v75, v48, v25 dst_sel:DWORD dst_unused:UNUSED_PAD src0_sel:DWORD src1_sel:WORD_1
	;; [unrolled: 1-line block ×3, first 2 shown]
	v_fma_f16 v23, v23, v25, -v75
	v_fma_f16 v25, v48, v25, v76
	v_pack_b32_f16 v23, v23, v25
	v_mul_f16_sdwa v25, v66, v56 dst_sel:DWORD dst_unused:UNUSED_PAD src0_sel:DWORD src1_sel:WORD_1
	v_mul_f16_sdwa v48, v24, v56 dst_sel:DWORD dst_unused:UNUSED_PAD src0_sel:DWORD src1_sel:WORD_1
	;; [unrolled: 1-line block ×5, first 2 shown]
	s_waitcnt vmcnt(4)
	v_mul_f16_sdwa v81, v70, v60 dst_sel:DWORD dst_unused:UNUSED_PAD src0_sel:DWORD src1_sel:WORD_1
	v_mul_f16_sdwa v82, v34, v60 dst_sel:DWORD dst_unused:UNUSED_PAD src0_sel:DWORD src1_sel:WORD_1
	s_waitcnt vmcnt(3)
	v_mul_f16_sdwa v83, v71, v61 dst_sel:DWORD dst_unused:UNUSED_PAD src0_sel:DWORD src1_sel:WORD_1
	v_mul_f16_sdwa v84, v52, v61 dst_sel:DWORD dst_unused:UNUSED_PAD src0_sel:DWORD src1_sel:WORD_1
	;; [unrolled: 3-line block ×5, first 2 shown]
	v_fma_f16 v24, v24, v56, -v25
	v_fma_f16 v25, v66, v56, v48
	v_fma_f16 v31, v31, v57, -v75
	v_fma_f16 v48, v67, v57, v76
	;; [unrolled: 2-line block ×9, first 2 shown]
	v_pack_b32_f16 v24, v24, v25
	v_pack_b32_f16 v25, v31, v48
	;; [unrolled: 1-line block ×9, first 2 shown]
	ds_write2_b32 v37, v23, v24 offset1:65
	ds_write2_b32 v37, v25, v31 offset0:130 offset1:195
	ds_write2_b32 v26, v32, v33 offset0:4 offset1:69
	;; [unrolled: 1-line block ×4, first 2 shown]
	s_waitcnt lgkmcnt(0)
	s_barrier
	ds_read2_b32 v[23:24], v37 offset1:65
	ds_read2_b32 v[31:32], v26 offset0:4 offset1:69
	ds_read2_b32 v[33:34], v26 offset0:134 offset1:199
	;; [unrolled: 1-line block ×4, first 2 shown]
	s_waitcnt lgkmcnt(0)
	s_barrier
	v_add_f16_e32 v25, v31, v33
	v_fma_f16 v25, v25, -0.5, v23
	v_sub_f16_sdwa v48, v52, v54 dst_sel:DWORD dst_unused:UNUSED_PAD src0_sel:WORD_1 src1_sel:WORD_1
	v_fma_f16 v56, v48, s1, v25
	v_sub_f16_sdwa v57, v31, v33 dst_sel:DWORD dst_unused:UNUSED_PAD src0_sel:WORD_1 src1_sel:WORD_1
	v_sub_f16_e32 v58, v54, v33
	v_sub_f16_e32 v59, v52, v31
	v_fma_f16 v25, v48, s5, v25
	v_fma_f16 v56, v57, s0, v56
	v_add_f16_e32 v58, v59, v58
	v_fma_f16 v25, v57, s6, v25
	v_fma_f16 v56, v58, s4, v56
	v_fma_f16 v25, v58, s4, v25
	v_add_f16_e32 v58, v52, v54
	v_fma_f16 v58, v58, -0.5, v23
	v_fma_f16 v59, v57, s5, v58
	v_sub_f16_e32 v60, v33, v54
	v_sub_f16_e32 v61, v31, v52
	v_fma_f16 v57, v57, s1, v58
	v_fma_f16 v59, v48, s0, v59
	v_add_f16_e32 v60, v61, v60
	v_fma_f16 v48, v48, s6, v57
	v_pk_add_f16 v57, v23, v52
	v_add_f16_sdwa v58, v31, v33 dst_sel:DWORD dst_unused:UNUSED_PAD src0_sel:WORD_1 src1_sel:WORD_1
	v_lshrrev_b32_e32 v23, 16, v23
	v_fma_f16 v59, v60, s4, v59
	v_fma_f16 v48, v60, s4, v48
	v_fma_f16 v58, v58, -0.5, v23
	v_sub_f16_e32 v60, v52, v54
	v_fma_f16 v61, v60, s5, v58
	v_sub_f16_e32 v62, v31, v33
	v_sub_f16_sdwa v63, v52, v31 dst_sel:DWORD dst_unused:UNUSED_PAD src0_sel:WORD_1 src1_sel:WORD_1
	v_sub_f16_sdwa v64, v54, v33 dst_sel:DWORD dst_unused:UNUSED_PAD src0_sel:WORD_1 src1_sel:WORD_1
	v_fma_f16 v58, v60, s1, v58
	v_fma_f16 v61, v62, s6, v61
	v_add_f16_e32 v63, v63, v64
	v_fma_f16 v58, v62, s0, v58
	v_fma_f16 v61, v63, s4, v61
	;; [unrolled: 1-line block ×3, first 2 shown]
	v_add_f16_sdwa v63, v52, v54 dst_sel:DWORD dst_unused:UNUSED_PAD src0_sel:WORD_1 src1_sel:WORD_1
	v_pk_add_f16 v57, v57, v31
	v_fma_f16 v23, v63, -0.5, v23
	v_pk_add_f16 v57, v57, v33
	v_fma_f16 v63, v62, s1, v23
	v_sub_f16_sdwa v31, v31, v52 dst_sel:DWORD dst_unused:UNUSED_PAD src0_sel:WORD_1 src1_sel:WORD_1
	v_sub_f16_sdwa v33, v33, v54 dst_sel:DWORD dst_unused:UNUSED_PAD src0_sel:WORD_1 src1_sel:WORD_1
	v_fma_f16 v23, v62, s5, v23
	v_fma_f16 v63, v60, s6, v63
	v_add_f16_e32 v31, v31, v33
	v_fma_f16 v23, v60, s0, v23
	v_fma_f16 v33, v31, s4, v63
	;; [unrolled: 1-line block ×3, first 2 shown]
	v_add_f16_e32 v23, v32, v34
	v_fma_f16 v23, v23, -0.5, v24
	v_sub_f16_sdwa v52, v53, v55 dst_sel:DWORD dst_unused:UNUSED_PAD src0_sel:WORD_1 src1_sel:WORD_1
	v_pk_add_f16 v57, v57, v54
	v_fma_f16 v54, v52, s1, v23
	v_sub_f16_sdwa v60, v32, v34 dst_sel:DWORD dst_unused:UNUSED_PAD src0_sel:WORD_1 src1_sel:WORD_1
	v_sub_f16_e32 v62, v55, v34
	v_sub_f16_e32 v63, v53, v32
	v_fma_f16 v23, v52, s5, v23
	v_fma_f16 v54, v60, s0, v54
	v_add_f16_e32 v62, v63, v62
	v_fma_f16 v23, v60, s6, v23
	v_fma_f16 v54, v62, s4, v54
	;; [unrolled: 1-line block ×3, first 2 shown]
	v_add_f16_e32 v23, v53, v55
	v_fma_f16 v23, v23, -0.5, v24
	v_fma_f16 v63, v60, s5, v23
	v_sub_f16_e32 v64, v34, v55
	v_sub_f16_e32 v66, v32, v53
	v_fma_f16 v23, v60, s1, v23
	v_add_f16_e32 v64, v66, v64
	v_fma_f16 v23, v52, s6, v23
	v_fma_f16 v63, v52, s0, v63
	;; [unrolled: 1-line block ×3, first 2 shown]
	v_pk_add_f16 v23, v24, v53
	v_pk_add_f16 v23, v23, v32
	;; [unrolled: 1-line block ×4, first 2 shown]
	v_add_f16_sdwa v23, v32, v34 dst_sel:DWORD dst_unused:UNUSED_PAD src0_sel:WORD_1 src1_sel:WORD_1
	v_lshrrev_b32_e32 v24, 16, v24
	v_fma_f16 v63, v64, s4, v63
	v_fma_f16 v23, v23, -0.5, v24
	v_sub_f16_e32 v64, v53, v55
	v_fma_f16 v66, v64, s5, v23
	v_sub_f16_e32 v67, v32, v34
	v_sub_f16_sdwa v68, v53, v32 dst_sel:DWORD dst_unused:UNUSED_PAD src0_sel:WORD_1 src1_sel:WORD_1
	v_sub_f16_sdwa v69, v55, v34 dst_sel:DWORD dst_unused:UNUSED_PAD src0_sel:WORD_1 src1_sel:WORD_1
	v_fma_f16 v23, v64, s1, v23
	v_fma_f16 v66, v67, s6, v66
	v_add_f16_e32 v68, v68, v69
	v_fma_f16 v23, v67, s0, v23
	v_fma_f16 v66, v68, s4, v66
	;; [unrolled: 1-line block ×3, first 2 shown]
	v_add_f16_sdwa v23, v53, v55 dst_sel:DWORD dst_unused:UNUSED_PAD src0_sel:WORD_1 src1_sel:WORD_1
	v_fma_f16 v23, v23, -0.5, v24
	v_fma_f16 v24, v67, s1, v23
	v_sub_f16_sdwa v32, v32, v53 dst_sel:DWORD dst_unused:UNUSED_PAD src0_sel:WORD_1 src1_sel:WORD_1
	v_sub_f16_sdwa v34, v34, v55 dst_sel:DWORD dst_unused:UNUSED_PAD src0_sel:WORD_1 src1_sel:WORD_1
	v_fma_f16 v23, v67, s5, v23
	v_fma_f16 v24, v64, s6, v24
	v_add_f16_e32 v32, v32, v34
	v_fma_f16 v23, v64, s0, v23
	v_fma_f16 v24, v32, s4, v24
	;; [unrolled: 1-line block ×3, first 2 shown]
	v_mul_f16_e32 v23, 0xb8b4, v66
	v_fma_f16 v34, v54, s7, v23
	v_mul_f16_e32 v23, 0xbb9c, v24
	v_fma_f16 v55, v63, s4, v23
	v_mul_f16_e32 v23, 0xbb9c, v32
	v_mul_f16_e32 v54, 0x38b4, v54
	;; [unrolled: 1-line block ×4, first 2 shown]
	v_fma_f16 v67, v52, s12, v23
	v_mul_f16_e32 v23, 0xb8b4, v68
	s_mov_b32 s12, 0xba79
	v_fma_f16 v54, v66, s7, v54
	v_fma_f16 v24, v63, s5, v24
	;; [unrolled: 1-line block ×3, first 2 shown]
	v_mul_f16_e32 v68, 0xba79, v68
	v_add_f16_e32 v53, v56, v34
	v_add_f16_e32 v64, v59, v55
	;; [unrolled: 1-line block ×3, first 2 shown]
	v_fma_f16 v70, v62, s12, v23
	v_add_f16_e32 v66, v61, v54
	v_add_f16_e32 v63, v33, v24
	;; [unrolled: 1-line block ×3, first 2 shown]
	v_fma_f16 v62, v62, s6, v68
	v_add_f16_e32 v71, v25, v70
	v_pk_add_f16 v23, v57, v60
	v_add_f16_e32 v68, v58, v62
	v_sub_f16_e32 v34, v56, v34
	v_sub_f16_e32 v55, v59, v55
	;; [unrolled: 1-line block ×5, first 2 shown]
	v_pack_b32_f16 v32, v69, v52
	v_pack_b32_f16 v31, v64, v63
	;; [unrolled: 1-line block ×3, first 2 shown]
	v_sub_f16_e32 v48, v48, v67
	v_sub_f16_e32 v25, v25, v70
	;; [unrolled: 1-line block ×3, first 2 shown]
	ds_write2_b64 v49, v[23:24], v[31:32] offset1:1
	v_pk_add_f16 v24, v57, v60 neg_lo:[0,1] neg_hi:[0,1]
	v_pack_b32_f16 v32, v55, v33
	v_pack_b32_f16 v31, v34, v54
	;; [unrolled: 1-line block ×3, first 2 shown]
	ds_write2_b64 v49, v[23:24], v[31:32] offset0:2 offset1:3
	v_pack_b32_f16 v24, v25, v58
	v_pack_b32_f16 v23, v48, v56
	ds_write_b64 v49, v[23:24] offset:32
	s_waitcnt lgkmcnt(0)
	s_barrier
	ds_read2_b32 v[32:33], v37 offset1:65
	ds_read2_b32 v[23:24], v37 offset0:130 offset1:195
	ds_read2_b32 v[48:49], v26 offset0:4 offset1:69
	;; [unrolled: 1-line block ×4, first 2 shown]
	s_waitcnt lgkmcnt(4)
	v_lshrrev_b32_e32 v34, 16, v32
	s_waitcnt lgkmcnt(3)
	v_lshrrev_b32_e32 v25, 16, v23
	v_mul_f16_sdwa v63, v4, v25 dst_sel:DWORD dst_unused:UNUSED_PAD src0_sel:WORD_1 src1_sel:DWORD
	s_waitcnt lgkmcnt(2)
	v_lshrrev_b32_e32 v31, 16, v48
	v_fma_f16 v63, v4, v23, v63
	v_mul_f16_sdwa v23, v4, v23 dst_sel:DWORD dst_unused:UNUSED_PAD src0_sel:WORD_1 src1_sel:DWORD
	v_fma_f16 v23, v4, v25, -v23
	v_mul_f16_sdwa v4, v5, v31 dst_sel:DWORD dst_unused:UNUSED_PAD src0_sel:WORD_1 src1_sel:DWORD
	s_waitcnt lgkmcnt(1)
	v_lshrrev_b32_e32 v56, 16, v52
	v_fma_f16 v64, v5, v48, v4
	v_mul_f16_sdwa v4, v5, v48 dst_sel:DWORD dst_unused:UNUSED_PAD src0_sel:WORD_1 src1_sel:DWORD
	v_fma_f16 v48, v5, v31, -v4
	;; [unrolled: 6-line block ×3, first 2 shown]
	v_mul_f16_sdwa v4, v7, v57 dst_sel:DWORD dst_unused:UNUSED_PAD src0_sel:WORD_1 src1_sel:DWORD
	v_lshrrev_b32_e32 v59, 16, v24
	v_fma_f16 v52, v7, v54, v4
	v_mul_f16_sdwa v4, v7, v54 dst_sel:DWORD dst_unused:UNUSED_PAD src0_sel:WORD_1 src1_sel:DWORD
	v_fma_f16 v7, v7, v57, -v4
	v_mul_f16_sdwa v4, v0, v59 dst_sel:DWORD dst_unused:UNUSED_PAD src0_sel:WORD_1 src1_sel:DWORD
	v_lshrrev_b32_e32 v60, 16, v49
	v_fma_f16 v54, v0, v24, v4
	v_mul_f16_sdwa v4, v0, v24 dst_sel:DWORD dst_unused:UNUSED_PAD src0_sel:WORD_1 src1_sel:DWORD
	v_fma_f16 v56, v0, v59, -v4
	;; [unrolled: 5-line block ×4, first 2 shown]
	v_mul_f16_sdwa v0, v3, v62 dst_sel:DWORD dst_unused:UNUSED_PAD src0_sel:WORD_1 src1_sel:DWORD
	v_fma_f16 v61, v3, v55, v0
	v_mul_f16_sdwa v0, v3, v55 dst_sel:DWORD dst_unused:UNUSED_PAD src0_sel:WORD_1 src1_sel:DWORD
	v_add_f16_e32 v1, v64, v31
	v_fma_f16 v55, v3, v62, -v0
	v_fma_f16 v2, v1, -0.5, v32
	v_sub_f16_e32 v3, v23, v7
	v_fma_f16 v1, v3, s1, v2
	v_sub_f16_e32 v5, v48, v6
	v_sub_f16_e32 v4, v63, v64
	;; [unrolled: 1-line block ×3, first 2 shown]
	v_fma_f16 v2, v3, s5, v2
	v_fma_f16 v1, v5, s0, v1
	v_add_f16_e32 v4, v4, v24
	v_fma_f16 v2, v5, s6, v2
	v_fma_f16 v1, v4, s4, v1
	;; [unrolled: 1-line block ×3, first 2 shown]
	v_add_f16_e32 v4, v63, v52
	v_fma_f16 v24, v4, -0.5, v32
	v_add_f16_e32 v0, v32, v63
	v_fma_f16 v4, v5, s5, v24
	v_sub_f16_e32 v25, v64, v63
	v_sub_f16_e32 v32, v31, v52
	v_fma_f16 v5, v5, s1, v24
	v_fma_f16 v4, v3, s0, v4
	v_add_f16_e32 v25, v25, v32
	v_fma_f16 v3, v3, s6, v5
	v_fma_f16 v5, v25, s4, v3
	v_add_f16_e32 v3, v34, v23
	v_add_f16_e32 v3, v3, v48
	;; [unrolled: 1-line block ×4, first 2 shown]
	v_fma_f16 v4, v25, s4, v4
	v_add_f16_e32 v25, v3, v7
	v_add_f16_e32 v3, v48, v6
	;; [unrolled: 1-line block ×3, first 2 shown]
	v_fma_f16 v3, v3, -0.5, v34
	v_sub_f16_e32 v24, v63, v52
	v_add_f16_e32 v0, v0, v52
	v_fma_f16 v32, v24, s5, v3
	v_sub_f16_e32 v52, v64, v31
	v_fma_f16 v31, v52, s6, v32
	v_sub_f16_e32 v32, v23, v48
	v_sub_f16_e32 v49, v7, v6
	v_fma_f16 v3, v24, s1, v3
	v_add_f16_e32 v32, v32, v49
	v_fma_f16 v3, v52, s0, v3
	v_fma_f16 v49, v32, s4, v31
	;; [unrolled: 1-line block ×3, first 2 shown]
	v_add_f16_e32 v3, v23, v7
	v_fma_f16 v3, v3, -0.5, v34
	v_fma_f16 v32, v52, s1, v3
	v_sub_f16_e32 v23, v48, v23
	v_sub_f16_e32 v6, v6, v7
	v_fma_f16 v3, v52, s5, v3
	v_fma_f16 v32, v24, s6, v32
	v_add_f16_e32 v6, v23, v6
	v_fma_f16 v3, v24, s0, v3
	v_fma_f16 v48, v6, s4, v32
	;; [unrolled: 1-line block ×3, first 2 shown]
	v_add_f16_e32 v6, v57, v60
	v_fma_f16 v7, v6, -0.5, v33
	v_sub_f16_e32 v23, v56, v55
	v_fma_f16 v6, v23, s1, v7
	v_sub_f16_e32 v34, v59, v53
	v_sub_f16_e32 v24, v54, v57
	v_sub_f16_e32 v52, v61, v60
	v_fma_f16 v7, v23, s5, v7
	v_fma_f16 v6, v34, s0, v6
	v_add_f16_e32 v24, v24, v52
	v_fma_f16 v7, v34, s6, v7
	v_fma_f16 v6, v24, s4, v6
	v_fma_f16 v24, v24, s4, v7
	v_add_f16_e32 v7, v54, v61
	v_lshrrev_b32_e32 v58, 16, v33
	v_add_f16_e32 v3, v33, v54
	v_fma_f16 v33, v7, -0.5, v33
	v_fma_f16 v7, v34, s5, v33
	v_fma_f16 v33, v34, s1, v33
	;; [unrolled: 1-line block ×4, first 2 shown]
	v_add_f16_e32 v33, v58, v56
	v_add_f16_e32 v33, v33, v59
	v_add_f16_e32 v3, v3, v57
	v_sub_f16_e32 v52, v57, v54
	v_sub_f16_e32 v62, v60, v61
	v_add_f16_e32 v33, v33, v53
	v_add_f16_e32 v3, v3, v60
	;; [unrolled: 1-line block ×6, first 2 shown]
	v_fma_f16 v7, v52, s4, v7
	v_fma_f16 v23, v52, s4, v23
	v_fma_f16 v52, v33, -0.5, v58
	v_sub_f16_e32 v61, v54, v61
	v_fma_f16 v33, v61, s5, v52
	v_sub_f16_e32 v57, v57, v60
	v_sub_f16_e32 v54, v56, v59
	;; [unrolled: 1-line block ×3, first 2 shown]
	v_fma_f16 v52, v61, s1, v52
	v_fma_f16 v33, v57, s6, v33
	v_add_f16_e32 v54, v54, v60
	v_fma_f16 v52, v57, s0, v52
	v_fma_f16 v33, v54, s4, v33
	v_fma_f16 v54, v54, s4, v52
	v_add_f16_e32 v52, v56, v55
	v_fma_f16 v58, v52, -0.5, v58
	v_fma_f16 v52, v57, s1, v58
	v_sub_f16_e32 v56, v59, v56
	v_sub_f16_e32 v53, v53, v55
	v_fma_f16 v55, v57, s5, v58
	v_fma_f16 v52, v61, s6, v52
	v_add_f16_e32 v53, v56, v53
	v_fma_f16 v55, v61, s0, v55
	v_fma_f16 v52, v53, s4, v52
	;; [unrolled: 1-line block ×3, first 2 shown]
	v_pack_b32_f16 v55, v0, v25
	v_pack_b32_f16 v56, v1, v49
	s_barrier
	ds_write2_b32 v50, v55, v56 offset1:10
	v_pack_b32_f16 v55, v4, v48
	v_pack_b32_f16 v56, v5, v32
	ds_write2_b32 v50, v55, v56 offset0:20 offset1:30
	v_pack_b32_f16 v55, v2, v31
	ds_write_b32 v50, v55 offset:160
	v_pack_b32_f16 v50, v3, v34
	v_pack_b32_f16 v55, v6, v33
	ds_write2_b32 v51, v50, v55 offset1:10
	v_pack_b32_f16 v50, v7, v52
	v_pack_b32_f16 v55, v23, v53
	ds_write2_b32 v51, v50, v55 offset0:20 offset1:30
	v_pack_b32_f16 v50, v24, v54
	ds_write_b32 v51, v50 offset:160
	s_waitcnt lgkmcnt(0)
	s_barrier
	s_and_saveexec_b64 s[0:1], vcc
	s_cbranch_execz .LBB0_7
; %bb.6:
	v_add_u32_e32 v21, 0x600, v37
	ds_read2_b32 v[0:1], v37 offset1:50
	ds_read2_b32 v[4:5], v37 offset0:100 offset1:150
	ds_read2_b32 v[2:3], v37 offset0:200 offset1:250
	;; [unrolled: 1-line block ×5, first 2 shown]
	ds_read_b32 v29, v37 offset:2400
	s_waitcnt lgkmcnt(6)
	v_lshrrev_b32_e32 v25, 16, v0
	v_lshrrev_b32_e32 v49, 16, v1
	s_waitcnt lgkmcnt(5)
	v_lshrrev_b32_e32 v48, 16, v4
	v_lshrrev_b32_e32 v32, 16, v5
	;; [unrolled: 3-line block ×6, first 2 shown]
	s_waitcnt lgkmcnt(0)
	v_lshrrev_b32_e32 v30, 16, v29
.LBB0_7:
	s_or_b64 exec, exec, s[0:1]
	s_and_saveexec_b64 s[0:1], vcc
	s_cbranch_execz .LBB0_9
; %bb.8:
	v_mul_f16_sdwa v50, v12, v1 dst_sel:DWORD dst_unused:UNUSED_PAD src0_sel:WORD_1 src1_sel:DWORD
	v_fma_f16 v50, v12, v49, -v50
	v_mul_f16_sdwa v49, v12, v49 dst_sel:DWORD dst_unused:UNUSED_PAD src0_sel:WORD_1 src1_sel:DWORD
	v_mul_f16_sdwa v26, v19, v29 dst_sel:DWORD dst_unused:UNUSED_PAD src0_sel:WORD_1 src1_sel:DWORD
	v_fma_f16 v1, v12, v1, v49
	v_mul_f16_sdwa v49, v13, v4 dst_sel:DWORD dst_unused:UNUSED_PAD src0_sel:WORD_1 src1_sel:DWORD
	v_fma_f16 v26, v19, v30, -v26
	v_mul_f16_sdwa v12, v19, v30 dst_sel:DWORD dst_unused:UNUSED_PAD src0_sel:WORD_1 src1_sel:DWORD
	v_mul_f16_sdwa v30, v18, v22 dst_sel:DWORD dst_unused:UNUSED_PAD src0_sel:WORD_1 src1_sel:DWORD
	v_fma_f16 v49, v13, v48, -v49
	v_mul_f16_sdwa v48, v13, v48 dst_sel:DWORD dst_unused:UNUSED_PAD src0_sel:WORD_1 src1_sel:DWORD
	v_add_f16_e32 v51, v26, v50
	v_fma_f16 v12, v19, v29, v12
	v_fma_f16 v30, v18, v28, -v30
	v_fma_f16 v4, v13, v4, v48
	v_mul_f16_sdwa v13, v18, v28 dst_sel:DWORD dst_unused:UNUSED_PAD src0_sel:WORD_1 src1_sel:DWORD
	v_mul_f16_e32 v55, 0xbbc4, v51
	v_sub_f16_e32 v19, v1, v12
	s_movk_i32 s17, 0x33a8
	v_add_f16_e32 v56, v30, v49
	v_fma_f16 v13, v18, v22, v13
	v_fma_f16 v29, v19, s17, v55
	v_mul_f16_e32 v57, 0x3b15, v56
	v_sub_f16_e32 v18, v4, v13
	s_mov_b32 s7, 0xb770
	v_add_f16_e32 v29, v25, v29
	v_fma_f16 v22, v18, s7, v57
	v_add_f16_e32 v22, v22, v29
	v_mul_f16_sdwa v29, v14, v5 dst_sel:DWORD dst_unused:UNUSED_PAD src0_sel:WORD_1 src1_sel:DWORD
	v_mul_f16_sdwa v28, v17, v21 dst_sel:DWORD dst_unused:UNUSED_PAD src0_sel:WORD_1 src1_sel:DWORD
	v_fma_f16 v29, v14, v32, -v29
	v_mul_f16_sdwa v32, v14, v32 dst_sel:DWORD dst_unused:UNUSED_PAD src0_sel:WORD_1 src1_sel:DWORD
	v_fma_f16 v28, v17, v27, -v28
	v_fma_f16 v5, v14, v5, v32
	v_mul_f16_sdwa v14, v17, v27 dst_sel:DWORD dst_unused:UNUSED_PAD src0_sel:WORD_1 src1_sel:DWORD
	v_add_f16_e32 v48, v28, v29
	v_fma_f16 v14, v17, v21, v14
	v_mul_f16_e32 v58, 0xb9fd, v48
	v_sub_f16_e32 v17, v5, v14
	s_movk_i32 s15, 0x394e
	v_fma_f16 v21, v17, s15, v58
	v_mul_f16_sdwa v27, v15, v2 dst_sel:DWORD dst_unused:UNUSED_PAD src0_sel:WORD_1 src1_sel:DWORD
	v_add_f16_e32 v21, v21, v22
	v_mul_f16_sdwa v22, v16, v24 dst_sel:DWORD dst_unused:UNUSED_PAD src0_sel:WORD_1 src1_sel:DWORD
	v_fma_f16 v27, v15, v31, -v27
	v_mul_f16_sdwa v31, v15, v31 dst_sel:DWORD dst_unused:UNUSED_PAD src0_sel:WORD_1 src1_sel:DWORD
	v_fma_f16 v22, v16, v54, -v22
	v_fma_f16 v2, v15, v2, v31
	v_mul_f16_sdwa v15, v16, v54 dst_sel:DWORD dst_unused:UNUSED_PAD src0_sel:WORD_1 src1_sel:DWORD
	v_add_f16_e32 v32, v22, v27
	v_fma_f16 v15, v16, v24, v15
	v_mul_f16_e32 v59, 0x388b, v32
	v_sub_f16_e32 v16, v2, v15
	s_mov_b32 s14, 0xba95
	v_fma_f16 v24, v16, s14, v59
	v_mul_f16_sdwa v31, v8, v3 dst_sel:DWORD dst_unused:UNUSED_PAD src0_sel:WORD_1 src1_sel:DWORD
	v_add_f16_e32 v21, v24, v21
	v_mul_f16_sdwa v24, v11, v23 dst_sel:DWORD dst_unused:UNUSED_PAD src0_sel:WORD_1 src1_sel:DWORD
	v_fma_f16 v31, v8, v34, -v31
	v_mul_f16_sdwa v34, v8, v34 dst_sel:DWORD dst_unused:UNUSED_PAD src0_sel:WORD_1 src1_sel:DWORD
	v_fma_f16 v24, v11, v53, -v24
	v_fma_f16 v3, v8, v3, v34
	v_mul_f16_sdwa v8, v11, v53 dst_sel:DWORD dst_unused:UNUSED_PAD src0_sel:WORD_1 src1_sel:DWORD
	v_add_f16_e32 v54, v24, v31
	v_fma_f16 v8, v11, v23, v8
	v_mul_f16_e32 v60, 0xb5ac, v54
	v_sub_f16_e32 v11, v3, v8
	s_movk_i32 s23, 0x3b7b
	v_fma_f16 v23, v11, s23, v60
	v_mul_f16_sdwa v34, v9, v6 dst_sel:DWORD dst_unused:UNUSED_PAD src0_sel:WORD_1 src1_sel:DWORD
	v_add_f16_e32 v21, v23, v21
	v_mul_f16_sdwa v23, v10, v7 dst_sel:DWORD dst_unused:UNUSED_PAD src0_sel:WORD_1 src1_sel:DWORD
	v_fma_f16 v34, v9, v33, -v34
	v_mul_f16_sdwa v33, v9, v33 dst_sel:DWORD dst_unused:UNUSED_PAD src0_sel:WORD_1 src1_sel:DWORD
	v_fma_f16 v23, v10, v52, -v23
	v_fma_f16 v6, v9, v6, v33
	v_mul_f16_sdwa v9, v10, v52 dst_sel:DWORD dst_unused:UNUSED_PAD src0_sel:WORD_1 src1_sel:DWORD
	v_add_f16_e32 v53, v23, v34
	v_fma_f16 v7, v10, v7, v9
	v_mul_f16_e32 v61, 0x2fb7, v53
	v_sub_f16_e32 v9, v6, v7
	s_mov_b32 s19, 0xbbf1
	v_fma_f16 v10, v9, s19, v61
	v_sub_f16_e32 v33, v50, v26
	s_mov_b32 s4, 0xbbc4
	v_add_f16_e32 v10, v10, v21
	v_add_f16_e32 v21, v12, v1
	v_mul_f16_e32 v52, 0xb3a8, v33
	v_sub_f16_e32 v64, v49, v30
	s_movk_i32 s5, 0x3b15
	v_fma_f16 v62, v21, s4, v52
	v_add_f16_e32 v63, v13, v4
	v_mul_f16_e32 v65, 0x3770, v64
	v_add_f16_e32 v62, v0, v62
	v_fma_f16 v66, v63, s5, v65
	v_sub_f16_e32 v67, v29, v28
	s_mov_b32 s6, 0xb9fd
	v_add_f16_e32 v62, v66, v62
	v_add_f16_e32 v66, v14, v5
	v_mul_f16_e32 v68, 0xb94e, v67
	v_fma_f16 v69, v66, s6, v68
	v_sub_f16_e32 v70, v27, v22
	s_movk_i32 s12, 0x388b
	v_add_f16_e32 v62, v69, v62
	v_add_f16_e32 v69, v15, v2
	v_mul_f16_e32 v71, 0x3a95, v70
	v_fma_f16 v72, v69, s12, v71
	v_sub_f16_e32 v73, v31, v24
	s_mov_b32 s13, 0xb5ac
	v_add_f16_e32 v62, v72, v62
	v_add_f16_e32 v72, v8, v3
	v_mul_f16_e32 v74, 0xbb7b, v73
	v_fma_f16 v75, v72, s13, v74
	v_sub_f16_e32 v76, v34, v23
	s_movk_i32 s16, 0x2fb7
	v_add_f16_e32 v62, v75, v62
	v_add_f16_e32 v75, v7, v6
	v_mul_f16_e32 v77, 0x3bf1, v76
	v_fma_f16 v78, v75, s16, v77
	v_add_f16_e32 v62, v78, v62
	v_mul_f16_e32 v78, 0xb9fd, v51
	v_fma_f16 v79, v19, s15, v78
	v_mul_f16_e32 v80, 0x2fb7, v56
	v_add_f16_e32 v79, v25, v79
	v_fma_f16 v81, v18, s19, v80
	s_movk_i32 s25, 0x3a95
	v_add_f16_e32 v79, v81, v79
	v_mul_f16_e32 v81, 0x388b, v48
	v_fma_f16 v82, v17, s25, v81
	s_mov_b32 s18, 0xb3a8
	v_add_f16_e32 v79, v82, v79
	v_mul_f16_e32 v82, 0xbbc4, v32
	v_fma_f16 v83, v16, s18, v82
	v_add_f16_e32 v79, v83, v79
	v_mul_f16_e32 v83, 0x3b15, v54
	v_fma_f16 v84, v11, s7, v83
	;; [unrolled: 3-line block ×4, first 2 shown]
	v_mul_f16_e32 v87, 0x3bf1, v64
	v_add_f16_e32 v86, v0, v86
	v_fma_f16 v88, v63, s16, v87
	v_add_f16_e32 v86, v88, v86
	v_mul_f16_e32 v88, 0xba95, v67
	v_fma_f16 v89, v66, s12, v88
	v_add_f16_e32 v86, v89, v86
	v_mul_f16_e32 v89, 0x33a8, v70
	;; [unrolled: 3-line block ×5, first 2 shown]
	s_mov_b32 s20, 0xb94e
	v_fma_f16 v93, v19, s23, v92
	v_mul_f16_e32 v94, 0xb9fd, v56
	v_add_f16_e32 v93, v25, v93
	v_fma_f16 v95, v18, s20, v94
	v_add_f16_e32 v93, v95, v93
	v_mul_f16_e32 v95, 0x3b15, v48
	v_fma_f16 v96, v17, s7, v95
	s_movk_i32 s24, 0x3bf1
	v_add_f16_e32 v93, v96, v93
	v_mul_f16_e32 v96, 0x2fb7, v32
	v_fma_f16 v97, v16, s24, v96
	v_add_f16_e32 v93, v97, v93
	v_mul_f16_e32 v97, 0xbbc4, v54
	v_fma_f16 v98, v11, s18, v97
	;; [unrolled: 3-line block ×4, first 2 shown]
	v_mul_f16_e32 v101, 0x394e, v64
	v_add_f16_e32 v100, v0, v100
	v_fma_f16 v102, v63, s6, v101
	v_add_f16_e32 v100, v102, v100
	v_mul_f16_e32 v102, 0x3770, v67
	v_fma_f16 v103, v66, s5, v102
	v_add_f16_e32 v1, v0, v1
	v_add_f16_e32 v100, v103, v100
	v_mul_f16_e32 v103, 0xbbf1, v70
	v_add_f16_e32 v1, v4, v1
	v_fma_f16 v104, v69, s16, v103
	v_add_f16_e32 v1, v5, v1
	v_add_f16_e32 v100, v104, v100
	v_mul_f16_e32 v104, 0x33a8, v73
	v_add_f16_e32 v1, v2, v1
	s_movk_i32 s22, 0x3770
	v_fma_f16 v105, v72, s4, v104
	v_add_f16_e32 v1, v3, v1
	v_fma_f16 v3, v19, s18, v55
	v_add_f16_e32 v100, v105, v100
	v_mul_f16_e32 v105, 0x3a95, v76
	v_add_f16_e32 v3, v25, v3
	v_fma_f16 v4, v18, s22, v57
	v_fma_f16 v106, v75, s12, v105
	v_add_f16_e32 v3, v4, v3
	v_fma_f16 v4, v17, s20, v58
	s_mov_b32 s21, 0xbb7b
	v_add_f16_e32 v100, v106, v100
	v_mul_f16_e32 v106, 0x2fb7, v51
	v_add_f16_e32 v3, v4, v3
	v_fma_f16 v4, v16, s25, v59
	v_fma_f16 v107, v19, s24, v106
	v_mul_f16_e32 v108, 0xbbc4, v56
	v_add_f16_e32 v3, v4, v3
	v_fma_f16 v4, v11, s21, v60
	v_add_f16_e32 v107, v25, v107
	v_fma_f16 v109, v18, s17, v108
	;; [unrolled: 2-line block ×3, first 2 shown]
	v_add_f16_e32 v107, v109, v107
	v_mul_f16_e32 v109, 0xb5ac, v48
	v_add_f16_e32 v3, v4, v3
	v_fma_f16 v4, v21, s4, -v52
	v_fma_f16 v110, v17, s21, v109
	v_add_f16_e32 v4, v0, v4
	v_fma_f16 v5, v63, s5, -v65
	v_add_f16_e32 v107, v110, v107
	v_mul_f16_e32 v110, 0x3b15, v32
	v_add_f16_e32 v4, v5, v4
	v_fma_f16 v5, v66, s6, -v68
	v_fma_f16 v111, v16, s7, v110
	v_add_f16_e32 v4, v5, v4
	v_fma_f16 v5, v69, s12, -v71
	;; [unrolled: 7-line block ×3, first 2 shown]
	v_add_f16_e32 v107, v112, v107
	v_mul_f16_e32 v112, 0xb9fd, v53
	v_add_f16_e32 v4, v5, v4
	v_fma_f16 v5, v19, s20, v78
	v_fma_f16 v113, v9, s15, v112
	v_add_f16_e32 v1, v6, v1
	v_add_f16_e32 v5, v25, v5
	v_fma_f16 v6, v18, s24, v80
	v_add_f16_e32 v107, v113, v107
	v_mul_f16_e32 v113, 0xbbf1, v33
	v_add_f16_e32 v5, v6, v5
	v_fma_f16 v6, v17, s14, v81
	v_fma_f16 v114, v21, s16, v113
	v_mul_f16_e32 v115, 0xb3a8, v64
	v_add_f16_e32 v5, v6, v5
	v_fma_f16 v6, v16, s17, v82
	v_add_f16_e32 v114, v0, v114
	v_fma_f16 v116, v63, s4, v115
	;; [unrolled: 2-line block ×3, first 2 shown]
	v_add_f16_e32 v114, v116, v114
	v_mul_f16_e32 v116, 0x3b7b, v67
	v_add_f16_e32 v5, v6, v5
	v_fma_f16 v6, v9, s21, v84
	v_fma_f16 v117, v66, s13, v116
	v_add_f16_e32 v5, v6, v5
	v_fma_f16 v6, v21, s6, -v85
	v_add_f16_e32 v114, v117, v114
	v_mul_f16_e32 v117, 0x3770, v70
	v_add_f16_e32 v1, v7, v1
	v_add_f16_e32 v6, v0, v6
	v_fma_f16 v7, v63, s16, -v87
	v_fma_f16 v118, v69, s5, v117
	v_add_f16_e32 v6, v7, v6
	v_fma_f16 v7, v66, s12, -v88
	v_add_f16_e32 v114, v118, v114
	v_mul_f16_e32 v118, 0xba95, v73
	v_add_f16_e32 v6, v7, v6
	v_fma_f16 v7, v69, s4, -v89
	v_fma_f16 v119, v72, s12, v118
	v_add_f16_e32 v6, v7, v6
	v_fma_f16 v7, v72, s5, -v90
	v_add_f16_e32 v114, v119, v114
	v_mul_f16_e32 v119, 0xb94e, v76
	v_add_f16_e32 v6, v7, v6
	v_fma_f16 v7, v75, s13, -v91
	v_fma_f16 v120, v75, s6, v119
	v_add_f16_e32 v6, v7, v6
	v_fma_f16 v7, v19, s21, v92
	v_add_f16_e32 v114, v120, v114
	v_mul_f16_e32 v120, 0x388b, v51
	v_add_f16_e32 v1, v8, v1
	v_add_f16_e32 v7, v25, v7
	v_fma_f16 v8, v18, s15, v94
	v_fma_f16 v121, v19, s25, v120
	v_mul_f16_e32 v122, 0xb5ac, v56
	v_add_f16_e32 v7, v8, v7
	v_fma_f16 v8, v17, s22, v95
	v_add_f16_e32 v121, v25, v121
	v_fma_f16 v123, v18, s23, v122
	;; [unrolled: 2-line block ×3, first 2 shown]
	v_add_f16_e32 v121, v123, v121
	v_mul_f16_e32 v123, 0xbbc4, v48
	v_add_f16_e32 v1, v15, v1
	v_add_f16_e32 v7, v8, v7
	v_fma_f16 v8, v11, s17, v97
	v_fma_f16 v124, v17, s17, v123
	v_add_f16_e32 v1, v14, v1
	v_add_f16_e32 v7, v8, v7
	v_fma_f16 v8, v9, s25, v98
	v_add_f16_e32 v121, v124, v121
	v_mul_f16_e32 v124, 0xb9fd, v32
	v_add_f16_e32 v1, v13, v1
	v_add_f16_e32 v7, v8, v7
	v_fma_f16 v8, v21, s13, -v99
	v_fma_f16 v125, v16, s20, v124
	v_add_f16_e32 v1, v12, v1
	v_add_f16_e32 v8, v0, v8
	v_fma_f16 v12, v63, s6, -v101
	v_add_f16_e32 v121, v125, v121
	v_mul_f16_e32 v125, 0x2fb7, v54
	v_add_f16_e32 v8, v12, v8
	v_fma_f16 v12, v66, s5, -v102
	v_fma_f16 v126, v11, s19, v125
	v_add_f16_e32 v8, v12, v8
	v_fma_f16 v12, v69, s16, -v103
	v_add_f16_e32 v121, v126, v121
	v_mul_f16_e32 v126, 0x3b15, v53
	v_add_f16_e32 v8, v12, v8
	v_fma_f16 v12, v72, s4, -v104
	v_fma_f16 v127, v9, s7, v126
	v_add_f16_e32 v8, v12, v8
	v_fma_f16 v12, v75, s12, -v105
	v_add_f16_e32 v121, v127, v121
	v_mul_f16_e32 v127, 0xba95, v33
	v_add_f16_e32 v8, v12, v8
	v_fma_f16 v12, v19, s19, v106
	v_fma_f16 v128, v21, s12, v127
	v_mul_f16_e32 v129, 0xbb7b, v64
	v_add_f16_e32 v12, v25, v12
	v_fma_f16 v13, v18, s18, v108
	v_add_f16_e32 v128, v0, v128
	v_fma_f16 v130, v63, s13, v129
	;; [unrolled: 2-line block ×3, first 2 shown]
	v_add_f16_e32 v128, v130, v128
	v_mul_f16_e32 v130, 0xb3a8, v67
	v_add_f16_e32 v12, v13, v12
	v_fma_f16 v13, v16, s22, v110
	v_fma_f16 v131, v66, s4, v130
	v_add_f16_e32 v12, v13, v12
	v_fma_f16 v13, v11, s14, v111
	v_add_f16_e32 v128, v131, v128
	v_mul_f16_e32 v131, 0x394e, v70
	v_add_f16_e32 v12, v13, v12
	v_fma_f16 v13, v9, s20, v112
	v_fma_f16 v132, v69, s6, v131
	v_add_f16_e32 v12, v13, v12
	v_fma_f16 v13, v21, s16, -v113
	v_add_f16_e32 v128, v132, v128
	v_mul_f16_e32 v132, 0x3bf1, v73
	v_add_f16_e32 v13, v0, v13
	v_fma_f16 v14, v63, s4, -v115
	v_fma_f16 v133, v72, s16, v132
	v_add_f16_e32 v13, v14, v13
	v_fma_f16 v14, v66, s13, -v116
	v_add_f16_e32 v128, v133, v128
	v_mul_f16_e32 v133, 0x3770, v76
	v_add_f16_e32 v13, v14, v13
	v_fma_f16 v14, v69, s5, -v117
	v_fma_f16 v134, v75, s5, v133
	v_mul_f16_e32 v51, 0x3b15, v51
	v_add_f16_e32 v13, v14, v13
	v_fma_f16 v14, v72, s12, -v118
	v_add_f16_e32 v128, v134, v128
	v_fma_f16 v134, v19, s22, v51
	v_mul_f16_e32 v56, 0x388b, v56
	v_add_f16_e32 v2, v50, v25
	v_add_f16_e32 v13, v14, v13
	v_fma_f16 v14, v75, s6, -v119
	v_add_f16_e32 v134, v25, v134
	v_fma_f16 v135, v18, s25, v56
	v_mul_f16_e32 v48, 0x2fb7, v48
	v_add_f16_e32 v2, v49, v2
	v_add_f16_e32 v13, v14, v13
	v_fma_f16 v14, v19, s14, v120
	v_fma_f16 v19, v19, s7, v51
	v_add_f16_e32 v134, v135, v134
	v_fma_f16 v135, v17, s24, v48
	v_mul_f16_e32 v32, 0xb5ac, v32
	v_add_f16_e32 v2, v29, v2
	v_add_f16_e32 v14, v25, v14
	v_fma_f16 v15, v18, s21, v122
	v_add_f16_e32 v19, v25, v19
	v_fma_f16 v18, v18, s14, v56
	v_add_f16_e32 v134, v135, v134
	v_fma_f16 v135, v16, s23, v32
	v_mul_f16_e32 v54, 0xb9fd, v54
	v_add_f16_e32 v2, v27, v2
	v_add_f16_e32 v14, v15, v14
	v_fma_f16 v15, v17, s18, v123
	v_add_f16_e32 v18, v18, v19
	;; [unrolled: 8-line block ×5, first 2 shown]
	v_fma_f16 v9, v9, s18, v53
	v_add_f16_e32 v135, v0, v135
	v_fma_f16 v136, v63, s12, v64
	v_mul_f16_e32 v67, 0xbbf1, v67
	v_add_f16_e32 v2, v24, v2
	v_add_f16_e32 v14, v15, v14
	v_fma_f16 v15, v21, s12, -v127
	v_add_f16_e32 v9, v9, v11
	v_fma_f16 v11, v21, s5, -v33
	v_add_f16_e32 v135, v136, v135
	v_fma_f16 v136, v66, s16, v67
	v_mul_f16_e32 v70, 0xbb7b, v70
	v_add_f16_e32 v2, v22, v2
	v_add_f16_e32 v15, v0, v15
	;; [unrolled: 1-line block ×3, first 2 shown]
	v_fma_f16 v11, v63, s12, -v64
	v_add_f16_e32 v135, v136, v135
	v_fma_f16 v136, v69, s13, v70
	v_mul_f16_e32 v73, 0xb94e, v73
	v_add_f16_e32 v2, v28, v2
	v_add_f16_e32 v0, v11, v0
	v_fma_f16 v11, v66, s16, -v67
	v_add_f16_e32 v135, v136, v135
	v_fma_f16 v136, v72, s6, v73
	v_mul_f16_e32 v76, 0xb3a8, v76
	v_add_f16_e32 v2, v30, v2
	v_add_f16_e32 v0, v11, v0
	v_fma_f16 v11, v69, s13, -v70
	v_add_f16_e32 v135, v136, v135
	v_fma_f16 v136, v75, s4, v76
	v_add_f16_e32 v2, v26, v2
	v_add_f16_e32 v0, v11, v0
	v_fma_f16 v11, v72, s6, -v73
	v_add_f16_e32 v135, v136, v135
	v_fma_f16 v22, v63, s13, -v129
	;; [unrolled: 2-line block ×3, first 2 shown]
	v_pack_b32_f16 v1, v1, v2
	v_add_f16_e32 v15, v22, v15
	v_fma_f16 v22, v66, s4, -v130
	v_add_f16_e32 v0, v11, v0
	ds_write_b32 v37, v1
	v_lshl_add_u32 v1, v45, 2, v47
	v_pack_b32_f16 v2, v135, v134
	v_pack_b32_f16 v11, v128, v121
	v_add_f16_e32 v15, v22, v15
	v_fma_f16 v22, v69, s6, -v131
	ds_write2_b32 v1, v2, v11 offset0:50 offset1:100
	v_pack_b32_f16 v2, v114, v107
	v_pack_b32_f16 v11, v100, v93
	v_add_f16_e32 v15, v22, v15
	v_fma_f16 v22, v72, s16, -v132
	ds_write2_b32 v1, v2, v11 offset0:150 offset1:200
	v_pack_b32_f16 v2, v86, v79
	v_pack_b32_f16 v10, v62, v10
	v_add_u32_e32 v11, 0x200, v1
	v_add_f16_e32 v15, v22, v15
	v_fma_f16 v22, v75, s5, -v133
	ds_write2_b32 v11, v2, v10 offset0:122 offset1:172
	v_pack_b32_f16 v2, v4, v3
	v_pack_b32_f16 v3, v6, v5
	v_add_u32_e32 v4, 0x400, v1
	v_add_f16_e32 v15, v22, v15
	ds_write2_b32 v4, v2, v3 offset0:94 offset1:144
	v_pack_b32_f16 v2, v8, v7
	v_pack_b32_f16 v3, v13, v12
	ds_write2_b32 v4, v2, v3 offset0:194 offset1:244
	v_pack_b32_f16 v2, v15, v14
	v_pack_b32_f16 v0, v0, v9
	v_add_u32_e32 v1, 0x800, v1
	ds_write2_b32 v1, v2, v0 offset0:38 offset1:88
.LBB0_9:
	s_or_b64 exec, exec, s[0:1]
	s_waitcnt lgkmcnt(0)
	s_barrier
	ds_read2_b32 v[0:1], v37 offset1:65
	s_mov_b32 s4, 0x7f9b2ce6
	s_mov_b32 s5, 0x3f5934c6
	v_mad_u64_u32 v[4:5], s[0:1], s10, v20, 0
	s_waitcnt lgkmcnt(0)
	v_lshrrev_b32_e32 v7, 16, v0
	v_mul_f16_sdwa v2, v46, v7 dst_sel:DWORD dst_unused:UNUSED_PAD src0_sel:WORD_1 src1_sel:DWORD
	v_fma_f16 v2, v46, v0, v2
	v_cvt_f32_f16_e32 v2, v2
	s_movk_i32 s6, 0x1ff
	v_mad_u64_u32 v[5:6], s[0:1], s11, v20, v[5:6]
	v_cvt_f64_f32_e32 v[2:3], v2
	s_movk_i32 s7, 0xffe
	v_mul_f16_sdwa v0, v46, v0 dst_sel:DWORD dst_unused:UNUSED_PAD src0_sel:WORD_1 src1_sel:DWORD
	v_fma_f16 v0, v46, v7, -v0
	v_mul_f64 v[2:3], v[2:3], s[4:5]
	v_cvt_f32_f16_e32 v7, v0
	v_mov_b32_e32 v0, 0x7c00
	s_movk_i32 s10, 0x40f
	s_mov_b32 s11, 0x8000
	v_lshrrev_b32_e32 v11, 16, v1
	v_and_or_b32 v2, v3, s6, v2
	v_cmp_ne_u32_e32 vcc, 0, v2
	v_lshrrev_b32_e32 v6, 8, v3
	v_bfe_u32 v8, v3, 20, 11
	v_cndmask_b32_e64 v2, 0, 1, vcc
	v_sub_u32_e32 v9, 0x3f1, v8
	v_and_or_b32 v2, v6, s7, v2
	v_or_b32_e32 v6, 0x1000, v2
	v_med3_i32 v9, v9, 0, 13
	v_lshrrev_b32_e32 v10, v9, v6
	v_lshlrev_b32_e32 v9, v9, v10
	v_cmp_ne_u32_e32 vcc, v9, v6
	v_cndmask_b32_e64 v6, 0, 1, vcc
	v_add_u32_e32 v8, 0xfffffc10, v8
	v_or_b32_e32 v6, v10, v6
	v_lshl_or_b32 v9, v8, 12, v2
	v_cmp_gt_i32_e32 vcc, 1, v8
	v_cndmask_b32_e32 v6, v9, v6, vcc
	v_and_b32_e32 v9, 7, v6
	v_cmp_lt_i32_e32 vcc, 5, v9
	v_cmp_eq_u32_e64 s[0:1], 3, v9
	v_lshrrev_b32_e32 v6, 2, v6
	s_or_b64 vcc, s[0:1], vcc
	v_addc_co_u32_e32 v9, vcc, 0, v6, vcc
	v_cvt_f64_f32_e32 v[6:7], v7
	v_cmp_gt_i32_e32 vcc, 31, v8
	v_cndmask_b32_e32 v9, v0, v9, vcc
	v_cmp_ne_u32_e32 vcc, 0, v2
	v_mul_f64 v[6:7], v[6:7], s[4:5]
	v_cndmask_b32_e64 v2, 0, 1, vcc
	v_lshl_or_b32 v2, v2, 9, v0
	v_cmp_eq_u32_e32 vcc, s10, v8
	v_cndmask_b32_e32 v2, v9, v2, vcc
	v_lshrrev_b32_e32 v3, 16, v3
	v_and_or_b32 v8, v3, s11, v2
	v_and_b32_e32 v8, 0xffff, v8
	v_and_or_b32 v2, v7, s6, v6
	v_cmp_ne_u32_e32 vcc, 0, v2
	v_cndmask_b32_e64 v2, 0, 1, vcc
	v_lshrrev_b32_e32 v3, 8, v7
	v_bfe_u32 v6, v7, 20, 11
	v_and_or_b32 v2, v3, s7, v2
	v_sub_u32_e32 v9, 0x3f1, v6
	v_or_b32_e32 v3, 0x1000, v2
	v_med3_i32 v9, v9, 0, 13
	v_lshrrev_b32_e32 v10, v9, v3
	v_lshlrev_b32_e32 v9, v9, v10
	v_cmp_ne_u32_e32 vcc, v9, v3
	v_cndmask_b32_e64 v3, 0, 1, vcc
	v_add_u32_e32 v6, 0xfffffc10, v6
	v_or_b32_e32 v3, v10, v3
	v_lshl_or_b32 v9, v6, 12, v2
	v_cmp_gt_i32_e32 vcc, 1, v6
	v_cndmask_b32_e32 v3, v9, v3, vcc
	v_and_b32_e32 v9, 7, v3
	v_cmp_lt_i32_e32 vcc, 5, v9
	v_cmp_eq_u32_e64 s[0:1], 3, v9
	v_lshrrev_b32_e32 v3, 2, v3
	s_or_b64 vcc, s[0:1], vcc
	v_addc_co_u32_e32 v3, vcc, 0, v3, vcc
	v_cmp_gt_i32_e32 vcc, 31, v6
	v_cndmask_b32_e32 v9, v0, v3, vcc
	v_cmp_ne_u32_e32 vcc, 0, v2
	v_cndmask_b32_e64 v2, 0, 1, vcc
	v_lshl_or_b32 v10, v2, 9, v0
	v_mad_u64_u32 v[2:3], s[0:1], s8, v45, 0
	v_cmp_eq_u32_e32 vcc, s10, v6
	v_cndmask_b32_e32 v9, v9, v10, vcc
	v_lshrrev_b32_e32 v10, 16, v7
	v_mad_u64_u32 v[6:7], s[0:1], s9, v45, v[3:4]
	v_mul_f16_sdwa v3, v44, v11 dst_sel:DWORD dst_unused:UNUSED_PAD src0_sel:WORD_1 src1_sel:DWORD
	v_fma_f16 v3, v44, v1, v3
	v_cvt_f32_f16_e32 v7, v3
	v_mov_b32_e32 v3, v6
	v_lshlrev_b64 v[4:5], 2, v[4:5]
	v_and_or_b32 v9, v10, s11, v9
	v_cvt_f64_f32_e32 v[6:7], v7
	v_lshl_or_b32 v8, v9, 16, v8
	v_mov_b32_e32 v9, s3
	v_add_co_u32_e32 v4, vcc, s2, v4
	v_mul_f64 v[6:7], v[6:7], s[4:5]
	v_lshlrev_b64 v[2:3], 2, v[2:3]
	v_addc_co_u32_e32 v5, vcc, v9, v5, vcc
	v_add_co_u32_e32 v2, vcc, v4, v2
	v_addc_co_u32_e32 v3, vcc, v5, v3, vcc
	v_and_or_b32 v4, v7, s6, v6
	v_cmp_ne_u32_e32 vcc, 0, v4
	v_cndmask_b32_e64 v4, 0, 1, vcc
	v_lshrrev_b32_e32 v5, 8, v7
	v_and_or_b32 v6, v5, s7, v4
	v_bfe_u32 v5, v7, 20, 11
	global_store_dword v[2:3], v8, off
	v_sub_u32_e32 v8, 0x3f1, v5
	v_or_b32_e32 v4, 0x1000, v6
	v_med3_i32 v8, v8, 0, 13
	v_lshrrev_b32_e32 v9, v8, v4
	v_lshlrev_b32_e32 v8, v8, v9
	v_mul_f16_sdwa v1, v44, v1 dst_sel:DWORD dst_unused:UNUSED_PAD src0_sel:WORD_1 src1_sel:DWORD
	v_cmp_ne_u32_e32 vcc, v8, v4
	v_fma_f16 v1, v44, v11, -v1
	v_cndmask_b32_e64 v4, 0, 1, vcc
	v_add_u32_e32 v8, 0xfffffc10, v5
	v_cvt_f32_f16_e32 v1, v1
	v_or_b32_e32 v4, v9, v4
	v_lshl_or_b32 v5, v8, 12, v6
	v_cmp_gt_i32_e32 vcc, 1, v8
	v_cndmask_b32_e32 v4, v5, v4, vcc
	v_and_b32_e32 v5, 7, v4
	v_cmp_lt_i32_e32 vcc, 5, v5
	v_cmp_eq_u32_e64 s[0:1], 3, v5
	v_lshrrev_b32_e32 v9, 2, v4
	v_cvt_f64_f32_e32 v[4:5], v1
	s_or_b64 vcc, s[0:1], vcc
	v_addc_co_u32_e32 v1, vcc, 0, v9, vcc
	v_mul_f64 v[4:5], v[4:5], s[4:5]
	v_cmp_gt_i32_e32 vcc, 31, v8
	v_cndmask_b32_e32 v1, v0, v1, vcc
	v_cmp_ne_u32_e32 vcc, 0, v6
	v_cndmask_b32_e64 v6, 0, 1, vcc
	v_lshl_or_b32 v6, v6, 9, v0
	v_cmp_eq_u32_e32 vcc, s10, v8
	v_cndmask_b32_e32 v1, v1, v6, vcc
	v_and_or_b32 v4, v5, s6, v4
	v_lshrrev_b32_e32 v6, 16, v7
	v_cmp_ne_u32_e32 vcc, 0, v4
	v_and_or_b32 v1, v6, s11, v1
	v_cndmask_b32_e64 v4, 0, 1, vcc
	v_lshrrev_b32_e32 v6, 8, v5
	v_bfe_u32 v7, v5, 20, 11
	v_and_or_b32 v4, v6, s7, v4
	v_sub_u32_e32 v8, 0x3f1, v7
	v_or_b32_e32 v6, 0x1000, v4
	v_med3_i32 v8, v8, 0, 13
	v_lshrrev_b32_e32 v9, v8, v6
	v_lshlrev_b32_e32 v8, v8, v9
	v_cmp_ne_u32_e32 vcc, v8, v6
	v_cndmask_b32_e64 v6, 0, 1, vcc
	v_add_u32_e32 v8, 0xfffffc10, v7
	v_or_b32_e32 v6, v9, v6
	v_lshl_or_b32 v7, v8, 12, v4
	v_cmp_gt_i32_e32 vcc, 1, v8
	v_cndmask_b32_e32 v6, v7, v6, vcc
	v_and_b32_e32 v7, 7, v6
	v_cmp_lt_i32_e32 vcc, 5, v7
	v_cmp_eq_u32_e64 s[0:1], 3, v7
	v_lshrrev_b32_e32 v6, 2, v6
	s_or_b64 vcc, s[0:1], vcc
	v_addc_co_u32_e32 v6, vcc, 0, v6, vcc
	v_cmp_gt_i32_e32 vcc, 31, v8
	v_cndmask_b32_e32 v9, v0, v6, vcc
	ds_read2_b32 v[6:7], v37 offset0:130 offset1:195
	v_cmp_ne_u32_e32 vcc, 0, v4
	v_cndmask_b32_e64 v4, 0, 1, vcc
	v_lshl_or_b32 v4, v4, 9, v0
	v_cmp_eq_u32_e32 vcc, s10, v8
	s_waitcnt lgkmcnt(0)
	v_lshrrev_b32_e32 v8, 16, v6
	v_cndmask_b32_e32 v4, v9, v4, vcc
	v_mul_f16_sdwa v9, v43, v8 dst_sel:DWORD dst_unused:UNUSED_PAD src0_sel:WORD_1 src1_sel:DWORD
	v_fma_f16 v9, v43, v6, v9
	v_cvt_f32_f16_e32 v9, v9
	v_lshrrev_b32_e32 v5, 16, v5
	v_and_or_b32 v4, v5, s11, v4
	v_and_b32_e32 v1, 0xffff, v1
	v_lshl_or_b32 v10, v4, 16, v1
	v_cvt_f64_f32_e32 v[4:5], v9
	s_mul_i32 s0, s9, 0x104
	s_mul_hi_u32 s2, s8, 0x104
	s_add_i32 s2, s2, s0
	v_mul_f64 v[4:5], v[4:5], s[4:5]
	s_mul_i32 s3, s8, 0x104
	v_mov_b32_e32 v9, s2
	v_add_co_u32_e32 v1, vcc, s3, v2
	v_addc_co_u32_e32 v2, vcc, v3, v9, vcc
	global_store_dword v[1:2], v10, off
	v_and_or_b32 v3, v5, s6, v4
	v_cmp_ne_u32_e32 vcc, 0, v3
	v_cndmask_b32_e64 v3, 0, 1, vcc
	v_lshrrev_b32_e32 v4, 8, v5
	v_and_or_b32 v9, v4, s7, v3
	v_bfe_u32 v4, v5, 20, 11
	v_sub_u32_e32 v10, 0x3f1, v4
	v_or_b32_e32 v3, 0x1000, v9
	v_med3_i32 v10, v10, 0, 13
	v_lshrrev_b32_e32 v11, v10, v3
	v_lshlrev_b32_e32 v10, v10, v11
	v_mul_f16_sdwa v6, v43, v6 dst_sel:DWORD dst_unused:UNUSED_PAD src0_sel:WORD_1 src1_sel:DWORD
	v_cmp_ne_u32_e32 vcc, v10, v3
	v_fma_f16 v6, v43, v8, -v6
	v_cndmask_b32_e64 v3, 0, 1, vcc
	v_add_u32_e32 v10, 0xfffffc10, v4
	v_cvt_f32_f16_e32 v6, v6
	v_or_b32_e32 v3, v11, v3
	v_lshl_or_b32 v4, v10, 12, v9
	v_cmp_gt_i32_e32 vcc, 1, v10
	v_cndmask_b32_e32 v3, v4, v3, vcc
	v_and_b32_e32 v4, 7, v3
	v_cmp_lt_i32_e32 vcc, 5, v4
	v_cmp_eq_u32_e64 s[0:1], 3, v4
	v_lshrrev_b32_e32 v8, 2, v3
	v_cvt_f64_f32_e32 v[3:4], v6
	s_or_b64 vcc, s[0:1], vcc
	v_addc_co_u32_e32 v6, vcc, 0, v8, vcc
	v_mul_f64 v[3:4], v[3:4], s[4:5]
	v_cmp_gt_i32_e32 vcc, 31, v10
	v_cndmask_b32_e32 v6, v0, v6, vcc
	v_cmp_ne_u32_e32 vcc, 0, v9
	v_cndmask_b32_e64 v8, 0, 1, vcc
	v_lshl_or_b32 v8, v8, 9, v0
	v_cmp_eq_u32_e32 vcc, s10, v10
	v_cndmask_b32_e32 v6, v6, v8, vcc
	v_and_or_b32 v3, v4, s6, v3
	v_lshrrev_b32_e32 v5, 16, v5
	v_cmp_ne_u32_e32 vcc, 0, v3
	v_and_or_b32 v8, v5, s11, v6
	v_cndmask_b32_e64 v3, 0, 1, vcc
	v_lshrrev_b32_e32 v5, 8, v4
	v_bfe_u32 v6, v4, 20, 11
	v_and_or_b32 v3, v5, s7, v3
	v_sub_u32_e32 v9, 0x3f1, v6
	v_or_b32_e32 v5, 0x1000, v3
	v_med3_i32 v9, v9, 0, 13
	v_lshrrev_b32_e32 v10, v9, v5
	v_lshlrev_b32_e32 v9, v9, v10
	v_cmp_ne_u32_e32 vcc, v9, v5
	v_cndmask_b32_e64 v5, 0, 1, vcc
	v_add_u32_e32 v6, 0xfffffc10, v6
	v_or_b32_e32 v5, v10, v5
	v_lshl_or_b32 v9, v6, 12, v3
	v_cmp_gt_i32_e32 vcc, 1, v6
	v_cndmask_b32_e32 v5, v9, v5, vcc
	v_and_b32_e32 v9, 7, v5
	v_cmp_lt_i32_e32 vcc, 5, v9
	v_cmp_eq_u32_e64 s[0:1], 3, v9
	v_lshrrev_b32_e32 v9, 16, v7
	v_lshrrev_b32_e32 v5, 2, v5
	s_or_b64 vcc, s[0:1], vcc
	v_mul_f16_sdwa v10, v42, v9 dst_sel:DWORD dst_unused:UNUSED_PAD src0_sel:WORD_1 src1_sel:DWORD
	v_addc_co_u32_e32 v5, vcc, 0, v5, vcc
	v_fma_f16 v10, v42, v7, v10
	v_cmp_gt_i32_e32 vcc, 31, v6
	v_cvt_f32_f16_e32 v10, v10
	v_cndmask_b32_e32 v5, v0, v5, vcc
	v_cmp_ne_u32_e32 vcc, 0, v3
	v_cndmask_b32_e64 v3, 0, 1, vcc
	v_lshl_or_b32 v3, v3, 9, v0
	v_cmp_eq_u32_e32 vcc, s10, v6
	v_cndmask_b32_e32 v3, v5, v3, vcc
	v_cvt_f64_f32_e32 v[5:6], v10
	v_lshrrev_b32_e32 v4, 16, v4
	v_and_or_b32 v10, v4, s11, v3
	v_add_co_u32_e32 v1, vcc, s3, v1
	v_mul_f64 v[3:4], v[5:6], s[4:5]
	v_mov_b32_e32 v6, s2
	v_and_b32_e32 v8, 0xffff, v8
	v_addc_co_u32_e32 v2, vcc, v2, v6, vcc
	v_lshl_or_b32 v5, v10, 16, v8
	global_store_dword v[1:2], v5, off
	v_mul_f16_sdwa v7, v42, v7 dst_sel:DWORD dst_unused:UNUSED_PAD src0_sel:WORD_1 src1_sel:DWORD
	v_and_or_b32 v3, v4, s6, v3
	v_cmp_ne_u32_e32 vcc, 0, v3
	v_cndmask_b32_e64 v3, 0, 1, vcc
	v_lshrrev_b32_e32 v5, 8, v4
	v_bfe_u32 v6, v4, 20, 11
	v_and_or_b32 v3, v5, s7, v3
	v_sub_u32_e32 v8, 0x3f1, v6
	v_or_b32_e32 v5, 0x1000, v3
	v_med3_i32 v8, v8, 0, 13
	v_lshrrev_b32_e32 v10, v8, v5
	v_lshlrev_b32_e32 v8, v8, v10
	v_cmp_ne_u32_e32 vcc, v8, v5
	v_fma_f16 v7, v42, v9, -v7
	v_cndmask_b32_e64 v5, 0, 1, vcc
	v_add_u32_e32 v8, 0xfffffc10, v6
	v_cvt_f32_f16_e32 v7, v7
	v_or_b32_e32 v5, v10, v5
	v_lshl_or_b32 v6, v8, 12, v3
	v_cmp_gt_i32_e32 vcc, 1, v8
	v_cndmask_b32_e32 v5, v6, v5, vcc
	v_and_b32_e32 v6, 7, v5
	v_cmp_lt_i32_e32 vcc, 5, v6
	v_cmp_eq_u32_e64 s[0:1], 3, v6
	v_lshrrev_b32_e32 v9, 2, v5
	v_cvt_f64_f32_e32 v[5:6], v7
	s_or_b64 vcc, s[0:1], vcc
	v_addc_co_u32_e32 v7, vcc, 0, v9, vcc
	v_mul_f64 v[5:6], v[5:6], s[4:5]
	v_cmp_gt_i32_e32 vcc, 31, v8
	v_cndmask_b32_e32 v7, v0, v7, vcc
	v_cmp_ne_u32_e32 vcc, 0, v3
	v_cndmask_b32_e64 v3, 0, 1, vcc
	v_lshl_or_b32 v3, v3, 9, v0
	v_cmp_eq_u32_e32 vcc, s10, v8
	v_cndmask_b32_e32 v3, v7, v3, vcc
	v_lshrrev_b32_e32 v4, 16, v4
	v_and_or_b32 v9, v4, s11, v3
	v_and_or_b32 v3, v6, s6, v5
	v_cmp_ne_u32_e32 vcc, 0, v3
	v_cndmask_b32_e64 v3, 0, 1, vcc
	v_lshrrev_b32_e32 v4, 8, v6
	v_and_or_b32 v5, v4, s7, v3
	v_bfe_u32 v4, v6, 20, 11
	v_sub_u32_e32 v7, 0x3f1, v4
	v_or_b32_e32 v3, 0x1000, v5
	v_med3_i32 v7, v7, 0, 13
	v_lshrrev_b32_e32 v8, v7, v3
	v_lshlrev_b32_e32 v7, v7, v8
	v_cmp_ne_u32_e32 vcc, v7, v3
	v_cndmask_b32_e64 v3, 0, 1, vcc
	v_add_u32_e32 v7, 0xfffffc10, v4
	v_or_b32_e32 v3, v8, v3
	v_lshl_or_b32 v4, v7, 12, v5
	v_cmp_gt_i32_e32 vcc, 1, v7
	v_cndmask_b32_e32 v3, v4, v3, vcc
	v_and_b32_e32 v4, 7, v3
	v_cmp_lt_i32_e32 vcc, 5, v4
	v_cmp_eq_u32_e64 s[0:1], 3, v4
	v_lshrrev_b32_e32 v3, 2, v3
	s_or_b64 vcc, s[0:1], vcc
	v_add_u32_e32 v10, 0x400, v37
	v_addc_co_u32_e32 v8, vcc, 0, v3, vcc
	ds_read2_b32 v[3:4], v10 offset0:4 offset1:69
	v_cmp_gt_i32_e32 vcc, 31, v7
	v_cndmask_b32_e32 v8, v0, v8, vcc
	v_cmp_ne_u32_e32 vcc, 0, v5
	v_cndmask_b32_e64 v5, 0, 1, vcc
	s_waitcnt lgkmcnt(0)
	v_lshrrev_b32_e32 v11, 16, v3
	v_mul_f16_sdwa v12, v41, v11 dst_sel:DWORD dst_unused:UNUSED_PAD src0_sel:WORD_1 src1_sel:DWORD
	v_fma_f16 v12, v41, v3, v12
	v_cvt_f32_f16_e32 v12, v12
	v_lshl_or_b32 v5, v5, 9, v0
	v_cmp_eq_u32_e32 vcc, s10, v7
	v_cndmask_b32_e32 v5, v8, v5, vcc
	v_cvt_f64_f32_e32 v[7:8], v12
	v_lshrrev_b32_e32 v6, 16, v6
	v_and_or_b32 v12, v6, s11, v5
	v_add_co_u32_e32 v1, vcc, s3, v1
	v_mul_f64 v[5:6], v[7:8], s[4:5]
	v_mov_b32_e32 v8, s2
	v_and_b32_e32 v9, 0xffff, v9
	v_addc_co_u32_e32 v2, vcc, v2, v8, vcc
	v_lshl_or_b32 v7, v12, 16, v9
	global_store_dword v[1:2], v7, off
	v_mul_f16_sdwa v3, v41, v3 dst_sel:DWORD dst_unused:UNUSED_PAD src0_sel:WORD_1 src1_sel:DWORD
	v_and_or_b32 v5, v6, s6, v5
	v_cmp_ne_u32_e32 vcc, 0, v5
	v_cndmask_b32_e64 v5, 0, 1, vcc
	v_lshrrev_b32_e32 v7, 8, v6
	v_bfe_u32 v8, v6, 20, 11
	v_and_or_b32 v5, v7, s7, v5
	v_sub_u32_e32 v9, 0x3f1, v8
	v_or_b32_e32 v7, 0x1000, v5
	v_med3_i32 v9, v9, 0, 13
	v_lshrrev_b32_e32 v12, v9, v7
	v_lshlrev_b32_e32 v9, v9, v12
	v_cmp_ne_u32_e32 vcc, v9, v7
	v_fma_f16 v3, v41, v11, -v3
	v_cndmask_b32_e64 v7, 0, 1, vcc
	v_add_u32_e32 v9, 0xfffffc10, v8
	v_cvt_f32_f16_e32 v3, v3
	v_or_b32_e32 v7, v12, v7
	v_lshl_or_b32 v8, v9, 12, v5
	v_cmp_gt_i32_e32 vcc, 1, v9
	v_cndmask_b32_e32 v7, v8, v7, vcc
	v_and_b32_e32 v8, 7, v7
	v_cmp_lt_i32_e32 vcc, 5, v8
	v_cmp_eq_u32_e64 s[0:1], 3, v8
	v_lshrrev_b32_e32 v11, 2, v7
	v_cvt_f64_f32_e32 v[7:8], v3
	s_or_b64 vcc, s[0:1], vcc
	v_addc_co_u32_e32 v3, vcc, 0, v11, vcc
	v_mul_f64 v[7:8], v[7:8], s[4:5]
	v_cmp_gt_i32_e32 vcc, 31, v9
	v_cndmask_b32_e32 v3, v0, v3, vcc
	v_cmp_ne_u32_e32 vcc, 0, v5
	v_cndmask_b32_e64 v5, 0, 1, vcc
	v_lshl_or_b32 v5, v5, 9, v0
	v_cmp_eq_u32_e32 vcc, s10, v9
	v_cndmask_b32_e32 v3, v3, v5, vcc
	v_lshrrev_b32_e32 v5, 16, v6
	v_and_or_b32 v3, v5, s11, v3
	v_and_or_b32 v5, v8, s6, v7
	v_cmp_ne_u32_e32 vcc, 0, v5
	v_cndmask_b32_e64 v5, 0, 1, vcc
	v_lshrrev_b32_e32 v6, 8, v8
	v_bfe_u32 v7, v8, 20, 11
	v_and_or_b32 v5, v6, s7, v5
	v_sub_u32_e32 v9, 0x3f1, v7
	v_or_b32_e32 v6, 0x1000, v5
	v_med3_i32 v9, v9, 0, 13
	v_lshrrev_b32_e32 v11, v9, v6
	v_lshlrev_b32_e32 v9, v9, v11
	v_cmp_ne_u32_e32 vcc, v9, v6
	v_cndmask_b32_e64 v6, 0, 1, vcc
	v_add_u32_e32 v7, 0xfffffc10, v7
	v_or_b32_e32 v6, v11, v6
	v_lshl_or_b32 v9, v7, 12, v5
	v_cmp_gt_i32_e32 vcc, 1, v7
	v_cndmask_b32_e32 v6, v9, v6, vcc
	v_and_b32_e32 v9, 7, v6
	v_cmp_lt_i32_e32 vcc, 5, v9
	v_cmp_eq_u32_e64 s[0:1], 3, v9
	v_lshrrev_b32_e32 v9, 16, v4
	v_lshrrev_b32_e32 v6, 2, v6
	s_or_b64 vcc, s[0:1], vcc
	v_mul_f16_sdwa v11, v40, v9 dst_sel:DWORD dst_unused:UNUSED_PAD src0_sel:WORD_1 src1_sel:DWORD
	v_addc_co_u32_e32 v6, vcc, 0, v6, vcc
	v_fma_f16 v11, v40, v4, v11
	v_cmp_gt_i32_e32 vcc, 31, v7
	v_cvt_f32_f16_e32 v11, v11
	v_cndmask_b32_e32 v6, v0, v6, vcc
	v_cmp_ne_u32_e32 vcc, 0, v5
	v_cndmask_b32_e64 v5, 0, 1, vcc
	v_lshl_or_b32 v5, v5, 9, v0
	v_cmp_eq_u32_e32 vcc, s10, v7
	v_cndmask_b32_e32 v7, v6, v5, vcc
	v_cvt_f64_f32_e32 v[5:6], v11
	v_lshrrev_b32_e32 v8, 16, v8
	v_and_or_b32 v7, v8, s11, v7
	v_and_b32_e32 v3, 0xffff, v3
	v_mul_f64 v[5:6], v[5:6], s[4:5]
	v_lshl_or_b32 v3, v7, 16, v3
	v_mov_b32_e32 v7, s2
	v_add_co_u32_e32 v1, vcc, s3, v1
	v_addc_co_u32_e32 v2, vcc, v2, v7, vcc
	global_store_dword v[1:2], v3, off
	v_and_or_b32 v3, v6, s6, v5
	v_cmp_ne_u32_e32 vcc, 0, v3
	v_cndmask_b32_e64 v3, 0, 1, vcc
	v_lshrrev_b32_e32 v5, 8, v6
	v_bfe_u32 v7, v6, 20, 11
	v_and_or_b32 v5, v5, s7, v3
	v_sub_u32_e32 v8, 0x3f1, v7
	v_or_b32_e32 v3, 0x1000, v5
	v_med3_i32 v8, v8, 0, 13
	v_lshrrev_b32_e32 v11, v8, v3
	v_lshlrev_b32_e32 v8, v8, v11
	v_mul_f16_sdwa v4, v40, v4 dst_sel:DWORD dst_unused:UNUSED_PAD src0_sel:WORD_1 src1_sel:DWORD
	v_cmp_ne_u32_e32 vcc, v8, v3
	v_fma_f16 v4, v40, v9, -v4
	v_cndmask_b32_e64 v3, 0, 1, vcc
	v_add_u32_e32 v7, 0xfffffc10, v7
	v_cvt_f32_f16_e32 v4, v4
	v_or_b32_e32 v3, v11, v3
	v_lshl_or_b32 v8, v7, 12, v5
	v_cmp_gt_i32_e32 vcc, 1, v7
	v_cndmask_b32_e32 v3, v8, v3, vcc
	v_and_b32_e32 v8, 7, v3
	v_cmp_lt_i32_e32 vcc, 5, v8
	v_cmp_eq_u32_e64 s[0:1], 3, v8
	v_lshrrev_b32_e32 v8, 2, v3
	v_cvt_f64_f32_e32 v[3:4], v4
	s_or_b64 vcc, s[0:1], vcc
	v_addc_co_u32_e32 v8, vcc, 0, v8, vcc
	v_mul_f64 v[3:4], v[3:4], s[4:5]
	v_cmp_gt_i32_e32 vcc, 31, v7
	v_cndmask_b32_e32 v8, v0, v8, vcc
	v_cmp_ne_u32_e32 vcc, 0, v5
	v_cndmask_b32_e64 v5, 0, 1, vcc
	v_lshl_or_b32 v5, v5, 9, v0
	v_cmp_eq_u32_e32 vcc, s10, v7
	v_cndmask_b32_e32 v5, v8, v5, vcc
	v_and_or_b32 v3, v4, s6, v3
	v_lshrrev_b32_e32 v6, 16, v6
	v_cmp_ne_u32_e32 vcc, 0, v3
	v_and_or_b32 v9, v6, s11, v5
	v_cndmask_b32_e64 v3, 0, 1, vcc
	v_lshrrev_b32_e32 v5, 8, v4
	v_bfe_u32 v6, v4, 20, 11
	v_and_or_b32 v3, v5, s7, v3
	v_sub_u32_e32 v7, 0x3f1, v6
	v_or_b32_e32 v5, 0x1000, v3
	v_med3_i32 v7, v7, 0, 13
	v_lshrrev_b32_e32 v8, v7, v5
	v_lshlrev_b32_e32 v7, v7, v8
	v_cmp_ne_u32_e32 vcc, v7, v5
	v_cndmask_b32_e64 v5, 0, 1, vcc
	v_add_u32_e32 v7, 0xfffffc10, v6
	v_or_b32_e32 v5, v8, v5
	v_lshl_or_b32 v6, v7, 12, v3
	v_cmp_gt_i32_e32 vcc, 1, v7
	v_cndmask_b32_e32 v5, v6, v5, vcc
	v_and_b32_e32 v6, 7, v5
	v_cmp_lt_i32_e32 vcc, 5, v6
	v_cmp_eq_u32_e64 s[0:1], 3, v6
	v_lshrrev_b32_e32 v5, 2, v5
	s_or_b64 vcc, s[0:1], vcc
	v_addc_co_u32_e32 v8, vcc, 0, v5, vcc
	ds_read2_b32 v[5:6], v10 offset0:134 offset1:199
	v_cmp_gt_i32_e32 vcc, 31, v7
	v_cndmask_b32_e32 v8, v0, v8, vcc
	v_cmp_ne_u32_e32 vcc, 0, v3
	v_cndmask_b32_e64 v3, 0, 1, vcc
	s_waitcnt lgkmcnt(0)
	v_lshrrev_b32_e32 v10, 16, v5
	v_mul_f16_sdwa v11, v39, v10 dst_sel:DWORD dst_unused:UNUSED_PAD src0_sel:WORD_1 src1_sel:DWORD
	v_fma_f16 v11, v39, v5, v11
	v_cvt_f32_f16_e32 v11, v11
	v_lshl_or_b32 v3, v3, 9, v0
	v_cmp_eq_u32_e32 vcc, s10, v7
	v_cndmask_b32_e32 v3, v8, v3, vcc
	v_cvt_f64_f32_e32 v[7:8], v11
	v_lshrrev_b32_e32 v4, 16, v4
	v_and_or_b32 v11, v4, s11, v3
	v_add_co_u32_e32 v1, vcc, s3, v1
	v_mul_f64 v[3:4], v[7:8], s[4:5]
	v_mov_b32_e32 v8, s2
	v_and_b32_e32 v9, 0xffff, v9
	v_addc_co_u32_e32 v2, vcc, v2, v8, vcc
	v_lshl_or_b32 v7, v11, 16, v9
	global_store_dword v[1:2], v7, off
	v_mul_f16_sdwa v5, v39, v5 dst_sel:DWORD dst_unused:UNUSED_PAD src0_sel:WORD_1 src1_sel:DWORD
	v_and_or_b32 v3, v4, s6, v3
	v_cmp_ne_u32_e32 vcc, 0, v3
	v_cndmask_b32_e64 v3, 0, 1, vcc
	v_lshrrev_b32_e32 v7, 8, v4
	v_bfe_u32 v8, v4, 20, 11
	v_and_or_b32 v3, v7, s7, v3
	v_sub_u32_e32 v9, 0x3f1, v8
	v_or_b32_e32 v7, 0x1000, v3
	v_med3_i32 v9, v9, 0, 13
	v_lshrrev_b32_e32 v11, v9, v7
	v_lshlrev_b32_e32 v9, v9, v11
	v_cmp_ne_u32_e32 vcc, v9, v7
	v_fma_f16 v5, v39, v10, -v5
	v_cndmask_b32_e64 v7, 0, 1, vcc
	v_add_u32_e32 v9, 0xfffffc10, v8
	v_cvt_f32_f16_e32 v5, v5
	v_or_b32_e32 v7, v11, v7
	v_lshl_or_b32 v8, v9, 12, v3
	v_cmp_gt_i32_e32 vcc, 1, v9
	v_cndmask_b32_e32 v7, v8, v7, vcc
	v_and_b32_e32 v8, 7, v7
	v_cmp_lt_i32_e32 vcc, 5, v8
	v_cmp_eq_u32_e64 s[0:1], 3, v8
	v_lshrrev_b32_e32 v10, 2, v7
	v_cvt_f64_f32_e32 v[7:8], v5
	s_or_b64 vcc, s[0:1], vcc
	v_addc_co_u32_e32 v5, vcc, 0, v10, vcc
	v_mul_f64 v[7:8], v[7:8], s[4:5]
	v_cmp_gt_i32_e32 vcc, 31, v9
	v_cndmask_b32_e32 v5, v0, v5, vcc
	v_cmp_ne_u32_e32 vcc, 0, v3
	v_cndmask_b32_e64 v3, 0, 1, vcc
	v_lshl_or_b32 v3, v3, 9, v0
	v_cmp_eq_u32_e32 vcc, s10, v9
	v_cndmask_b32_e32 v3, v5, v3, vcc
	v_lshrrev_b32_e32 v4, 16, v4
	v_and_or_b32 v5, v4, s11, v3
	v_and_or_b32 v3, v8, s6, v7
	v_cmp_ne_u32_e32 vcc, 0, v3
	v_cndmask_b32_e64 v3, 0, 1, vcc
	v_lshrrev_b32_e32 v4, 8, v8
	v_bfe_u32 v7, v8, 20, 11
	v_and_or_b32 v3, v4, s7, v3
	v_sub_u32_e32 v9, 0x3f1, v7
	v_or_b32_e32 v4, 0x1000, v3
	v_med3_i32 v9, v9, 0, 13
	v_lshrrev_b32_e32 v10, v9, v4
	v_lshlrev_b32_e32 v9, v9, v10
	v_cmp_ne_u32_e32 vcc, v9, v4
	v_cndmask_b32_e64 v4, 0, 1, vcc
	v_add_u32_e32 v7, 0xfffffc10, v7
	v_or_b32_e32 v4, v10, v4
	v_lshl_or_b32 v9, v7, 12, v3
	v_cmp_gt_i32_e32 vcc, 1, v7
	v_cndmask_b32_e32 v4, v9, v4, vcc
	v_and_b32_e32 v9, 7, v4
	v_cmp_lt_i32_e32 vcc, 5, v9
	v_cmp_eq_u32_e64 s[0:1], 3, v9
	v_lshrrev_b32_e32 v9, 16, v6
	v_lshrrev_b32_e32 v4, 2, v4
	s_or_b64 vcc, s[0:1], vcc
	v_mul_f16_sdwa v10, v38, v9 dst_sel:DWORD dst_unused:UNUSED_PAD src0_sel:WORD_1 src1_sel:DWORD
	v_addc_co_u32_e32 v4, vcc, 0, v4, vcc
	v_fma_f16 v10, v38, v6, v10
	v_cmp_gt_i32_e32 vcc, 31, v7
	v_cvt_f32_f16_e32 v10, v10
	v_cndmask_b32_e32 v4, v0, v4, vcc
	v_cmp_ne_u32_e32 vcc, 0, v3
	v_cndmask_b32_e64 v3, 0, 1, vcc
	v_lshl_or_b32 v3, v3, 9, v0
	v_cmp_eq_u32_e32 vcc, s10, v7
	v_cndmask_b32_e32 v7, v4, v3, vcc
	v_cvt_f64_f32_e32 v[3:4], v10
	v_lshrrev_b32_e32 v8, 16, v8
	v_and_or_b32 v7, v8, s11, v7
	v_and_b32_e32 v5, 0xffff, v5
	v_mul_f64 v[3:4], v[3:4], s[4:5]
	v_lshl_or_b32 v5, v7, 16, v5
	v_mov_b32_e32 v7, s2
	v_add_co_u32_e32 v1, vcc, s3, v1
	v_addc_co_u32_e32 v2, vcc, v2, v7, vcc
	global_store_dword v[1:2], v5, off
	v_and_or_b32 v3, v4, s6, v3
	v_cmp_ne_u32_e32 vcc, 0, v3
	v_cndmask_b32_e64 v3, 0, 1, vcc
	v_lshrrev_b32_e32 v5, 8, v4
	v_bfe_u32 v7, v4, 20, 11
	v_and_or_b32 v3, v5, s7, v3
	v_sub_u32_e32 v8, 0x3f1, v7
	v_or_b32_e32 v5, 0x1000, v3
	v_med3_i32 v8, v8, 0, 13
	v_lshrrev_b32_e32 v10, v8, v5
	v_lshlrev_b32_e32 v8, v8, v10
	v_mul_f16_sdwa v6, v38, v6 dst_sel:DWORD dst_unused:UNUSED_PAD src0_sel:WORD_1 src1_sel:DWORD
	v_cmp_ne_u32_e32 vcc, v8, v5
	v_fma_f16 v6, v38, v9, -v6
	v_cndmask_b32_e64 v5, 0, 1, vcc
	v_add_u32_e32 v7, 0xfffffc10, v7
	v_cvt_f32_f16_e32 v6, v6
	v_or_b32_e32 v5, v10, v5
	v_lshl_or_b32 v8, v7, 12, v3
	v_cmp_gt_i32_e32 vcc, 1, v7
	v_cndmask_b32_e32 v5, v8, v5, vcc
	v_and_b32_e32 v8, 7, v5
	v_cmp_lt_i32_e32 vcc, 5, v8
	v_cmp_eq_u32_e64 s[0:1], 3, v8
	v_lshrrev_b32_e32 v8, 2, v5
	v_cvt_f64_f32_e32 v[5:6], v6
	s_or_b64 vcc, s[0:1], vcc
	v_addc_co_u32_e32 v8, vcc, 0, v8, vcc
	v_mul_f64 v[5:6], v[5:6], s[4:5]
	v_cmp_gt_i32_e32 vcc, 31, v7
	v_cndmask_b32_e32 v8, v0, v8, vcc
	v_cmp_ne_u32_e32 vcc, 0, v3
	v_cndmask_b32_e64 v3, 0, 1, vcc
	v_lshl_or_b32 v3, v3, 9, v0
	v_cmp_eq_u32_e32 vcc, s10, v7
	v_cndmask_b32_e32 v3, v8, v3, vcc
	v_lshrrev_b32_e32 v4, 16, v4
	v_and_or_b32 v9, v4, s11, v3
	v_and_or_b32 v3, v6, s6, v5
	v_cmp_ne_u32_e32 vcc, 0, v3
	v_cndmask_b32_e64 v3, 0, 1, vcc
	v_lshrrev_b32_e32 v4, 8, v6
	v_and_or_b32 v5, v4, s7, v3
	v_bfe_u32 v4, v6, 20, 11
	v_sub_u32_e32 v7, 0x3f1, v4
	v_or_b32_e32 v3, 0x1000, v5
	v_med3_i32 v7, v7, 0, 13
	v_lshrrev_b32_e32 v8, v7, v3
	v_lshlrev_b32_e32 v7, v7, v8
	v_cmp_ne_u32_e32 vcc, v7, v3
	v_cndmask_b32_e64 v3, 0, 1, vcc
	v_add_u32_e32 v7, 0xfffffc10, v4
	v_or_b32_e32 v3, v8, v3
	v_lshl_or_b32 v4, v7, 12, v5
	v_cmp_gt_i32_e32 vcc, 1, v7
	v_cndmask_b32_e32 v3, v4, v3, vcc
	v_and_b32_e32 v4, 7, v3
	v_cmp_lt_i32_e32 vcc, 5, v4
	v_cmp_eq_u32_e64 s[0:1], 3, v4
	v_lshrrev_b32_e32 v3, 2, v3
	s_or_b64 vcc, s[0:1], vcc
	v_addc_co_u32_e32 v8, vcc, 0, v3, vcc
	v_add_u32_e32 v3, 0x800, v37
	ds_read2_b32 v[3:4], v3 offset0:8 offset1:73
	v_cmp_gt_i32_e32 vcc, 31, v7
	v_cndmask_b32_e32 v8, v0, v8, vcc
	v_cmp_ne_u32_e32 vcc, 0, v5
	v_cndmask_b32_e64 v5, 0, 1, vcc
	s_waitcnt lgkmcnt(0)
	v_lshrrev_b32_e32 v10, 16, v3
	v_mul_f16_sdwa v11, v36, v10 dst_sel:DWORD dst_unused:UNUSED_PAD src0_sel:WORD_1 src1_sel:DWORD
	v_fma_f16 v11, v36, v3, v11
	v_cvt_f32_f16_e32 v11, v11
	v_lshl_or_b32 v5, v5, 9, v0
	v_cmp_eq_u32_e32 vcc, s10, v7
	v_cndmask_b32_e32 v5, v8, v5, vcc
	v_cvt_f64_f32_e32 v[7:8], v11
	v_lshrrev_b32_e32 v6, 16, v6
	v_and_or_b32 v11, v6, s11, v5
	v_add_co_u32_e32 v1, vcc, s3, v1
	v_mul_f64 v[5:6], v[7:8], s[4:5]
	v_mov_b32_e32 v8, s2
	v_and_b32_e32 v9, 0xffff, v9
	v_addc_co_u32_e32 v2, vcc, v2, v8, vcc
	v_lshl_or_b32 v7, v11, 16, v9
	global_store_dword v[1:2], v7, off
	v_mul_f16_sdwa v3, v36, v3 dst_sel:DWORD dst_unused:UNUSED_PAD src0_sel:WORD_1 src1_sel:DWORD
	v_and_or_b32 v5, v6, s6, v5
	v_cmp_ne_u32_e32 vcc, 0, v5
	v_cndmask_b32_e64 v5, 0, 1, vcc
	v_lshrrev_b32_e32 v7, 8, v6
	v_bfe_u32 v8, v6, 20, 11
	v_and_or_b32 v5, v7, s7, v5
	v_sub_u32_e32 v9, 0x3f1, v8
	v_or_b32_e32 v7, 0x1000, v5
	v_med3_i32 v9, v9, 0, 13
	v_lshrrev_b32_e32 v11, v9, v7
	v_lshlrev_b32_e32 v9, v9, v11
	v_cmp_ne_u32_e32 vcc, v9, v7
	v_fma_f16 v3, v36, v10, -v3
	v_cndmask_b32_e64 v7, 0, 1, vcc
	v_add_u32_e32 v9, 0xfffffc10, v8
	v_cvt_f32_f16_e32 v3, v3
	v_or_b32_e32 v7, v11, v7
	v_lshl_or_b32 v8, v9, 12, v5
	v_cmp_gt_i32_e32 vcc, 1, v9
	v_cndmask_b32_e32 v7, v8, v7, vcc
	v_and_b32_e32 v8, 7, v7
	v_cmp_lt_i32_e32 vcc, 5, v8
	v_cmp_eq_u32_e64 s[0:1], 3, v8
	v_lshrrev_b32_e32 v10, 2, v7
	v_cvt_f64_f32_e32 v[7:8], v3
	s_or_b64 vcc, s[0:1], vcc
	v_addc_co_u32_e32 v3, vcc, 0, v10, vcc
	v_mul_f64 v[7:8], v[7:8], s[4:5]
	v_cmp_gt_i32_e32 vcc, 31, v9
	v_cndmask_b32_e32 v3, v0, v3, vcc
	v_cmp_ne_u32_e32 vcc, 0, v5
	v_cndmask_b32_e64 v5, 0, 1, vcc
	v_lshl_or_b32 v5, v5, 9, v0
	v_cmp_eq_u32_e32 vcc, s10, v9
	v_cndmask_b32_e32 v3, v3, v5, vcc
	v_lshrrev_b32_e32 v5, 16, v6
	v_and_or_b32 v3, v5, s11, v3
	v_and_or_b32 v5, v8, s6, v7
	v_cmp_ne_u32_e32 vcc, 0, v5
	v_cndmask_b32_e64 v5, 0, 1, vcc
	v_lshrrev_b32_e32 v6, 8, v8
	v_bfe_u32 v7, v8, 20, 11
	v_and_or_b32 v5, v6, s7, v5
	v_sub_u32_e32 v9, 0x3f1, v7
	v_or_b32_e32 v6, 0x1000, v5
	v_med3_i32 v9, v9, 0, 13
	v_lshrrev_b32_e32 v10, v9, v6
	v_lshlrev_b32_e32 v9, v9, v10
	v_cmp_ne_u32_e32 vcc, v9, v6
	v_cndmask_b32_e64 v6, 0, 1, vcc
	v_add_u32_e32 v7, 0xfffffc10, v7
	v_or_b32_e32 v6, v10, v6
	v_lshl_or_b32 v9, v7, 12, v5
	v_cmp_gt_i32_e32 vcc, 1, v7
	v_cndmask_b32_e32 v6, v9, v6, vcc
	v_and_b32_e32 v9, 7, v6
	v_cmp_lt_i32_e32 vcc, 5, v9
	v_cmp_eq_u32_e64 s[0:1], 3, v9
	v_lshrrev_b32_e32 v9, 16, v4
	v_lshrrev_b32_e32 v6, 2, v6
	s_or_b64 vcc, s[0:1], vcc
	v_mul_f16_sdwa v10, v35, v9 dst_sel:DWORD dst_unused:UNUSED_PAD src0_sel:WORD_1 src1_sel:DWORD
	v_addc_co_u32_e32 v6, vcc, 0, v6, vcc
	v_fma_f16 v10, v35, v4, v10
	v_cmp_gt_i32_e32 vcc, 31, v7
	v_cvt_f32_f16_e32 v10, v10
	v_cndmask_b32_e32 v6, v0, v6, vcc
	v_cmp_ne_u32_e32 vcc, 0, v5
	v_cndmask_b32_e64 v5, 0, 1, vcc
	v_lshl_or_b32 v5, v5, 9, v0
	v_cmp_eq_u32_e32 vcc, s10, v7
	v_cndmask_b32_e32 v7, v6, v5, vcc
	v_cvt_f64_f32_e32 v[5:6], v10
	v_lshrrev_b32_e32 v8, 16, v8
	v_and_or_b32 v7, v8, s11, v7
	v_and_b32_e32 v3, 0xffff, v3
	v_mul_f64 v[5:6], v[5:6], s[4:5]
	v_lshl_or_b32 v3, v7, 16, v3
	v_mov_b32_e32 v7, s2
	v_add_co_u32_e32 v1, vcc, s3, v1
	v_addc_co_u32_e32 v2, vcc, v2, v7, vcc
	global_store_dword v[1:2], v3, off
	v_and_or_b32 v3, v6, s6, v5
	v_cmp_ne_u32_e32 vcc, 0, v3
	v_cndmask_b32_e64 v3, 0, 1, vcc
	v_lshrrev_b32_e32 v5, 8, v6
	v_bfe_u32 v7, v6, 20, 11
	v_and_or_b32 v5, v5, s7, v3
	v_sub_u32_e32 v8, 0x3f1, v7
	v_or_b32_e32 v3, 0x1000, v5
	v_med3_i32 v8, v8, 0, 13
	v_lshrrev_b32_e32 v10, v8, v3
	v_lshlrev_b32_e32 v8, v8, v10
	v_mul_f16_sdwa v4, v35, v4 dst_sel:DWORD dst_unused:UNUSED_PAD src0_sel:WORD_1 src1_sel:DWORD
	v_cmp_ne_u32_e32 vcc, v8, v3
	v_fma_f16 v4, v35, v9, -v4
	v_cndmask_b32_e64 v3, 0, 1, vcc
	v_add_u32_e32 v7, 0xfffffc10, v7
	v_cvt_f32_f16_e32 v4, v4
	v_or_b32_e32 v3, v10, v3
	v_lshl_or_b32 v8, v7, 12, v5
	v_cmp_gt_i32_e32 vcc, 1, v7
	v_cndmask_b32_e32 v3, v8, v3, vcc
	v_and_b32_e32 v8, 7, v3
	v_cmp_lt_i32_e32 vcc, 5, v8
	v_cmp_eq_u32_e64 s[0:1], 3, v8
	v_lshrrev_b32_e32 v8, 2, v3
	v_cvt_f64_f32_e32 v[3:4], v4
	s_or_b64 vcc, s[0:1], vcc
	v_addc_co_u32_e32 v8, vcc, 0, v8, vcc
	v_mul_f64 v[3:4], v[3:4], s[4:5]
	v_cmp_gt_i32_e32 vcc, 31, v7
	v_cndmask_b32_e32 v8, v0, v8, vcc
	v_cmp_ne_u32_e32 vcc, 0, v5
	v_cndmask_b32_e64 v5, 0, 1, vcc
	v_lshl_or_b32 v5, v5, 9, v0
	v_cmp_eq_u32_e32 vcc, s10, v7
	v_cndmask_b32_e32 v5, v8, v5, vcc
	v_and_or_b32 v3, v4, s6, v3
	v_lshrrev_b32_e32 v6, 16, v6
	v_cmp_ne_u32_e32 vcc, 0, v3
	v_and_or_b32 v5, v6, s11, v5
	v_cndmask_b32_e64 v3, 0, 1, vcc
	v_lshrrev_b32_e32 v6, 8, v4
	v_bfe_u32 v7, v4, 20, 11
	v_and_or_b32 v3, v6, s7, v3
	v_sub_u32_e32 v8, 0x3f1, v7
	v_or_b32_e32 v6, 0x1000, v3
	v_med3_i32 v8, v8, 0, 13
	v_lshrrev_b32_e32 v9, v8, v6
	v_lshlrev_b32_e32 v8, v8, v9
	v_cmp_ne_u32_e32 vcc, v8, v6
	v_cndmask_b32_e64 v6, 0, 1, vcc
	v_add_u32_e32 v7, 0xfffffc10, v7
	v_or_b32_e32 v6, v9, v6
	v_lshl_or_b32 v8, v7, 12, v3
	v_cmp_gt_i32_e32 vcc, 1, v7
	v_cndmask_b32_e32 v6, v8, v6, vcc
	v_and_b32_e32 v8, 7, v6
	v_cmp_lt_i32_e32 vcc, 5, v8
	v_cmp_eq_u32_e64 s[0:1], 3, v8
	v_lshrrev_b32_e32 v6, 2, v6
	s_or_b64 vcc, s[0:1], vcc
	v_addc_co_u32_e32 v6, vcc, 0, v6, vcc
	v_cmp_gt_i32_e32 vcc, 31, v7
	v_cndmask_b32_e32 v6, v0, v6, vcc
	v_cmp_ne_u32_e32 vcc, 0, v3
	v_cndmask_b32_e64 v3, 0, 1, vcc
	v_lshl_or_b32 v0, v3, 9, v0
	v_cmp_eq_u32_e32 vcc, s10, v7
	v_cndmask_b32_e32 v0, v6, v0, vcc
	v_lshrrev_b32_e32 v3, 16, v4
	v_and_or_b32 v0, v3, s11, v0
	v_and_b32_e32 v3, 0xffff, v5
	v_lshl_or_b32 v3, v0, 16, v3
	v_mov_b32_e32 v4, s2
	v_add_co_u32_e32 v0, vcc, s3, v1
	v_addc_co_u32_e32 v1, vcc, v2, v4, vcc
	global_store_dword v[0:1], v3, off
.LBB0_10:
	s_endpgm
	.section	.rodata,"a",@progbits
	.p2align	6, 0x0
	.amdhsa_kernel bluestein_single_back_len650_dim1_half_op_CI_CI
		.amdhsa_group_segment_fixed_size 7800
		.amdhsa_private_segment_fixed_size 0
		.amdhsa_kernarg_size 104
		.amdhsa_user_sgpr_count 6
		.amdhsa_user_sgpr_private_segment_buffer 1
		.amdhsa_user_sgpr_dispatch_ptr 0
		.amdhsa_user_sgpr_queue_ptr 0
		.amdhsa_user_sgpr_kernarg_segment_ptr 1
		.amdhsa_user_sgpr_dispatch_id 0
		.amdhsa_user_sgpr_flat_scratch_init 0
		.amdhsa_user_sgpr_private_segment_size 0
		.amdhsa_uses_dynamic_stack 0
		.amdhsa_system_sgpr_private_segment_wavefront_offset 0
		.amdhsa_system_sgpr_workgroup_id_x 1
		.amdhsa_system_sgpr_workgroup_id_y 0
		.amdhsa_system_sgpr_workgroup_id_z 0
		.amdhsa_system_sgpr_workgroup_info 0
		.amdhsa_system_vgpr_workitem_id 0
		.amdhsa_next_free_vgpr 199
		.amdhsa_next_free_sgpr 26
		.amdhsa_reserve_vcc 1
		.amdhsa_reserve_flat_scratch 0
		.amdhsa_float_round_mode_32 0
		.amdhsa_float_round_mode_16_64 0
		.amdhsa_float_denorm_mode_32 3
		.amdhsa_float_denorm_mode_16_64 3
		.amdhsa_dx10_clamp 1
		.amdhsa_ieee_mode 1
		.amdhsa_fp16_overflow 0
		.amdhsa_exception_fp_ieee_invalid_op 0
		.amdhsa_exception_fp_denorm_src 0
		.amdhsa_exception_fp_ieee_div_zero 0
		.amdhsa_exception_fp_ieee_overflow 0
		.amdhsa_exception_fp_ieee_underflow 0
		.amdhsa_exception_fp_ieee_inexact 0
		.amdhsa_exception_int_div_zero 0
	.end_amdhsa_kernel
	.text
.Lfunc_end0:
	.size	bluestein_single_back_len650_dim1_half_op_CI_CI, .Lfunc_end0-bluestein_single_back_len650_dim1_half_op_CI_CI
                                        ; -- End function
	.section	.AMDGPU.csdata,"",@progbits
; Kernel info:
; codeLenInByte = 18448
; NumSgprs: 30
; NumVgprs: 199
; ScratchSize: 0
; MemoryBound: 0
; FloatMode: 240
; IeeeMode: 1
; LDSByteSize: 7800 bytes/workgroup (compile time only)
; SGPRBlocks: 3
; VGPRBlocks: 49
; NumSGPRsForWavesPerEU: 30
; NumVGPRsForWavesPerEU: 199
; Occupancy: 1
; WaveLimiterHint : 1
; COMPUTE_PGM_RSRC2:SCRATCH_EN: 0
; COMPUTE_PGM_RSRC2:USER_SGPR: 6
; COMPUTE_PGM_RSRC2:TRAP_HANDLER: 0
; COMPUTE_PGM_RSRC2:TGID_X_EN: 1
; COMPUTE_PGM_RSRC2:TGID_Y_EN: 0
; COMPUTE_PGM_RSRC2:TGID_Z_EN: 0
; COMPUTE_PGM_RSRC2:TIDIG_COMP_CNT: 0
	.type	__hip_cuid_2abfcaf9a7463761,@object ; @__hip_cuid_2abfcaf9a7463761
	.section	.bss,"aw",@nobits
	.globl	__hip_cuid_2abfcaf9a7463761
__hip_cuid_2abfcaf9a7463761:
	.byte	0                               ; 0x0
	.size	__hip_cuid_2abfcaf9a7463761, 1

	.ident	"AMD clang version 19.0.0git (https://github.com/RadeonOpenCompute/llvm-project roc-6.4.0 25133 c7fe45cf4b819c5991fe208aaa96edf142730f1d)"
	.section	".note.GNU-stack","",@progbits
	.addrsig
	.addrsig_sym __hip_cuid_2abfcaf9a7463761
	.amdgpu_metadata
---
amdhsa.kernels:
  - .args:
      - .actual_access:  read_only
        .address_space:  global
        .offset:         0
        .size:           8
        .value_kind:     global_buffer
      - .actual_access:  read_only
        .address_space:  global
        .offset:         8
        .size:           8
        .value_kind:     global_buffer
      - .actual_access:  read_only
        .address_space:  global
        .offset:         16
        .size:           8
        .value_kind:     global_buffer
      - .actual_access:  read_only
        .address_space:  global
        .offset:         24
        .size:           8
        .value_kind:     global_buffer
      - .actual_access:  read_only
        .address_space:  global
        .offset:         32
        .size:           8
        .value_kind:     global_buffer
      - .offset:         40
        .size:           8
        .value_kind:     by_value
      - .address_space:  global
        .offset:         48
        .size:           8
        .value_kind:     global_buffer
      - .address_space:  global
        .offset:         56
        .size:           8
        .value_kind:     global_buffer
      - .address_space:  global
        .offset:         64
        .size:           8
        .value_kind:     global_buffer
      - .address_space:  global
        .offset:         72
        .size:           8
        .value_kind:     global_buffer
      - .offset:         80
        .size:           4
        .value_kind:     by_value
      - .address_space:  global
        .offset:         88
        .size:           8
        .value_kind:     global_buffer
      - .address_space:  global
        .offset:         96
        .size:           8
        .value_kind:     global_buffer
    .group_segment_fixed_size: 7800
    .kernarg_segment_align: 8
    .kernarg_segment_size: 104
    .language:       OpenCL C
    .language_version:
      - 2
      - 0
    .max_flat_workgroup_size: 195
    .name:           bluestein_single_back_len650_dim1_half_op_CI_CI
    .private_segment_fixed_size: 0
    .sgpr_count:     30
    .sgpr_spill_count: 0
    .symbol:         bluestein_single_back_len650_dim1_half_op_CI_CI.kd
    .uniform_work_group_size: 1
    .uses_dynamic_stack: false
    .vgpr_count:     199
    .vgpr_spill_count: 0
    .wavefront_size: 64
amdhsa.target:   amdgcn-amd-amdhsa--gfx906
amdhsa.version:
  - 1
  - 2
...

	.end_amdgpu_metadata
